;; amdgpu-corpus repo=ROCm/rocFFT kind=compiled arch=gfx950 opt=O3
	.text
	.amdgcn_target "amdgcn-amd-amdhsa--gfx950"
	.amdhsa_code_object_version 6
	.protected	bluestein_single_fwd_len3240_dim1_dp_op_CI_CI ; -- Begin function bluestein_single_fwd_len3240_dim1_dp_op_CI_CI
	.globl	bluestein_single_fwd_len3240_dim1_dp_op_CI_CI
	.p2align	8
	.type	bluestein_single_fwd_len3240_dim1_dp_op_CI_CI,@function
bluestein_single_fwd_len3240_dim1_dp_op_CI_CI: ; @bluestein_single_fwd_len3240_dim1_dp_op_CI_CI
; %bb.0:
	s_load_dwordx4 s[12:15], s[0:1], 0x28
	v_mul_u32_u24_e32 v1, 0x25f, v0
	v_add_u32_sdwa v252, s2, v1 dst_sel:DWORD dst_unused:UNUSED_PAD src0_sel:DWORD src1_sel:WORD_1
	v_mov_b32_e32 v253, 0
	s_waitcnt lgkmcnt(0)
	v_cmp_gt_u64_e32 vcc, s[12:13], v[252:253]
	s_and_saveexec_b64 s[2:3], vcc
	s_cbranch_execz .LBB0_2
; %bb.1:
	s_load_dwordx4 s[4:7], s[0:1], 0x0
	s_load_dwordx4 s[8:11], s[0:1], 0x18
	s_load_dwordx2 s[2:3], s[0:1], 0x38
	s_movk_i32 s0, 0x6c
	v_mul_lo_u16_sdwa v1, v1, s0 dst_sel:DWORD dst_unused:UNUSED_PAD src0_sel:WORD_1 src1_sel:DWORD
	s_mov_b32 s0, 0
	v_mov_b32_e32 v163, s0
	s_waitcnt lgkmcnt(0)
	v_mov_b32_e32 v4, s2
	v_mov_b32_e32 v5, s3
	s_load_dwordx4 s[0:3], s[10:11], 0x0
	scratch_store_dwordx2 off, v[4:5], off offset:576 ; 8-byte Folded Spill
	v_sub_u16_e32 v162, v0, v1
	v_mov_b32_e32 v2, s14
	v_mov_b32_e32 v3, s15
	s_waitcnt lgkmcnt(0)
	v_mad_u64_u32 v[4:5], s[10:11], s2, v252, 0
	s_load_dwordx4 s[8:11], s[8:9], 0x0
	v_mov_b32_e32 v0, v5
	v_mad_u64_u32 v[0:1], s[2:3], s3, v252, v[0:1]
	v_mov_b32_e32 v5, v0
	v_accvgpr_write_b32 a207, v5
	s_waitcnt lgkmcnt(0)
	v_mad_u64_u32 v[0:1], s[2:3], s10, v252, 0
	v_accvgpr_write_b32 a206, v4
	v_mov_b32_e32 v4, v1
	v_mad_u64_u32 v[4:5], s[2:3], s11, v252, v[4:5]
	v_mov_b32_e32 v1, v4
	v_mad_u64_u32 v[4:5], s[2:3], s8, v162, 0
	v_mov_b32_e32 v6, v5
	v_mad_u64_u32 v[6:7], s[2:3], s9, v162, v[6:7]
	v_mov_b32_e32 v5, v6
	v_lshl_add_u64 v[0:1], v[0:1], 4, v[2:3]
	v_lshl_add_u64 v[8:9], v[4:5], 4, v[0:1]
	v_lshlrev_b32_e32 v252, 4, v162
	global_load_dwordx4 v[0:3], v[8:9], off
	global_load_dwordx4 v[10:13], v252, s[4:5]
	v_mov_b32_e32 v254, 0x4380
	v_lshl_add_u64 v[132:133], s[4:5], 0, v[252:253]
	v_mad_u64_u32 v[8:9], s[2:3], s8, v254, v[8:9]
	s_movk_i32 s25, 0x4000
	s_mul_i32 s2, s9, 0x4380
	v_add_u32_e32 v9, s2, v9
	s_mov_b32 s24, 0x8000
	s_mul_i32 s3, s9, 0xffff7fc0
	s_sub_i32 s3, s3, s8
	v_mov_b32_e32 v18, 0xffff7fc0
                                        ; kill: killed $sgpr4_sgpr5
	s_mov_b32 s26, 0xa000
	s_movk_i32 s28, 0x2000
	s_movk_i32 s27, 0x6000
	s_mov_b32 s17, 0xbfee6f0e
	s_mov_b32 s12, 0x372fe950
	;; [unrolled: 1-line block ×10, first 2 shown]
	s_movk_i32 s29, 0x5a
	s_movk_i32 s30, 0xb7
	s_waitcnt vmcnt(0)
	scratch_store_dwordx4 off, v[10:13], off offset:80 ; 16-byte Folded Spill
	v_mul_f64 v[4:5], v[2:3], v[12:13]
	v_fmac_f64_e32 v[4:5], v[0:1], v[10:11]
	v_mul_f64 v[0:1], v[0:1], v[12:13]
	v_fma_f64 v[6:7], v[2:3], v[10:11], -v[0:1]
	v_add_co_u32_e32 v10, vcc, s25, v132
	global_load_dwordx4 v[0:3], v[8:9], off
	s_nop 0
	v_addc_co_u32_e32 v11, vcc, 0, v133, vcc
	global_load_dwordx4 v[12:15], v[10:11], off offset:896
	ds_write_b128 v252, v[4:7]
                                        ; kill: killed $vgpr10 killed $vgpr11
	s_waitcnt vmcnt(0)
	v_mul_f64 v[4:5], v[2:3], v[14:15]
	v_fmac_f64_e32 v[4:5], v[0:1], v[12:13]
	v_mul_f64 v[0:1], v[0:1], v[14:15]
	v_fma_f64 v[6:7], v[2:3], v[12:13], -v[0:1]
	scratch_store_dwordx4 off, v[12:15], off offset:96 ; 16-byte Folded Spill
	ds_write_b128 v252, v[4:7] offset:17280
	v_add_co_u32_e32 v4, vcc, s24, v132
	v_mad_u64_u32 v[12:13], s[10:11], s8, v254, v[8:9]
	v_add_u32_e32 v13, s2, v13
	v_addc_co_u32_e32 v5, vcc, 0, v133, vcc
	global_load_dwordx4 v[0:3], v[12:13], off
	global_load_dwordx4 v[14:17], v[4:5], off offset:1792
	s_mov_b64 s[10:11], 0x6c
	v_lshl_add_u64 v[136:137], v[162:163], 0, s[10:11]
	s_waitcnt vmcnt(0)
	v_mul_f64 v[6:7], v[2:3], v[16:17]
	v_fmac_f64_e32 v[6:7], v[0:1], v[14:15]
	v_mul_f64 v[0:1], v[0:1], v[16:17]
	v_fma_f64 v[8:9], v[2:3], v[14:15], -v[0:1]
	v_mov_b32_e32 v0, 0xffff7fc0
	v_mad_u64_u32 v[12:13], s[10:11], s8, v0, v[12:13]
	scratch_store_dwordx4 off, v[14:17], off offset:112 ; 16-byte Folded Spill
	ds_write_b128 v252, v[6:9] offset:34560
	v_add_u32_e32 v13, s3, v13
	global_load_dwordx4 v[0:3], v[12:13], off
	global_load_dwordx4 v[14:17], v252, s[4:5] offset:1728
	v_mad_u64_u32 v[12:13], s[10:11], s8, v254, v[12:13]
	v_add_u32_e32 v13, s2, v13
	s_waitcnt vmcnt(0)
	v_mul_f64 v[6:7], v[2:3], v[16:17]
	v_fmac_f64_e32 v[6:7], v[0:1], v[14:15]
	v_mul_f64 v[0:1], v[0:1], v[16:17]
	v_fma_f64 v[8:9], v[2:3], v[14:15], -v[0:1]
	scratch_store_dwordx4 off, v[14:17], off offset:144 ; 16-byte Folded Spill
	ds_write_b128 v252, v[6:9] offset:1728
	global_load_dwordx4 v[0:3], v[12:13], off
	global_load_dwordx4 v[14:17], v[10:11], off offset:2624
	v_mad_u64_u32 v[10:11], s[10:11], s8, v254, v[12:13]
	v_add_u32_e32 v11, s2, v11
	s_mov_b64 s[10:11], 0xd8
	v_lshl_add_u64 v[134:135], v[162:163], 0, s[10:11]
	s_waitcnt vmcnt(0)
	v_mul_f64 v[6:7], v[2:3], v[16:17]
	v_fmac_f64_e32 v[6:7], v[0:1], v[14:15]
	v_mul_f64 v[0:1], v[0:1], v[16:17]
	v_fma_f64 v[8:9], v[2:3], v[14:15], -v[0:1]
	scratch_store_dwordx4 off, v[14:17], off offset:160 ; 16-byte Folded Spill
	ds_write_b128 v252, v[6:9] offset:19008
	global_load_dwordx4 v[0:3], v[10:11], off
	global_load_dwordx4 v[12:15], v[4:5], off offset:3520
	v_mad_u64_u32 v[10:11], s[10:11], s8, v18, v[10:11]
	v_add_u32_e32 v11, s3, v11
	s_waitcnt vmcnt(0)
	v_mul_f64 v[6:7], v[2:3], v[14:15]
	v_fmac_f64_e32 v[6:7], v[0:1], v[12:13]
	v_mul_f64 v[0:1], v[0:1], v[14:15]
	v_fma_f64 v[8:9], v[2:3], v[12:13], -v[0:1]
	scratch_store_dwordx4 off, v[12:15], off offset:176 ; 16-byte Folded Spill
	ds_write_b128 v252, v[6:9] offset:36288
	global_load_dwordx4 v[0:3], v[10:11], off
	global_load_dwordx4 v[12:15], v252, s[4:5] offset:3456
	s_waitcnt vmcnt(0)
	v_mul_f64 v[6:7], v[2:3], v[14:15]
	v_fmac_f64_e32 v[6:7], v[0:1], v[12:13]
	v_mul_f64 v[0:1], v[0:1], v[14:15]
	v_fma_f64 v[8:9], v[2:3], v[12:13], -v[0:1]
	v_mad_u64_u32 v[2:3], s[4:5], s8, v254, v[10:11]
	s_movk_i32 s4, 0x5000
	s_nop 0
	v_add_co_u32_e32 v0, vcc, s4, v132
	v_add_u32_e32 v3, s2, v3
	s_nop 0
	v_addc_co_u32_e32 v1, vcc, 0, v133, vcc
	scratch_store_dwordx4 off, v[12:15], off offset:192 ; 16-byte Folded Spill
	ds_write_b128 v252, v[6:9] offset:3456
	global_load_dwordx4 v[6:9], v[2:3], off
	global_load_dwordx4 v[12:15], v[0:1], off offset:256
	v_mad_u64_u32 v[2:3], s[4:5], s8, v254, v[2:3]
	s_mov_b32 s4, 0x9000
	v_add_u32_e32 v3, s2, v3
                                        ; kill: killed $vgpr0 killed $vgpr1
	s_waitcnt vmcnt(0)
	v_mul_f64 v[10:11], v[8:9], v[14:15]
	scratch_store_dwordx4 off, v[12:15], off offset:208 ; 16-byte Folded Spill
	v_fmac_f64_e32 v[10:11], v[6:7], v[12:13]
	v_mul_f64 v[6:7], v[6:7], v[14:15]
	v_add_co_u32_e32 v14, vcc, s4, v132
	v_fma_f64 v[12:13], v[8:9], v[12:13], -v[6:7]
	s_nop 0
	v_addc_co_u32_e32 v15, vcc, 0, v133, vcc
	global_load_dwordx4 v[6:9], v[2:3], off
	global_load_dwordx4 v[20:23], v[14:15], off offset:1152
	s_mov_b64 s[4:5], 0x144
	v_lshl_add_u64 v[138:139], v[162:163], 0, s[4:5]
	v_mad_u64_u32 v[2:3], s[4:5], s8, v18, v[2:3]
	s_movk_i32 s4, 0x1000
	ds_write_b128 v252, v[10:13] offset:20736
	v_add_co_u32_e32 v16, vcc, s4, v132
	v_add_u32_e32 v3, s3, v3
	s_nop 0
	v_addc_co_u32_e32 v17, vcc, 0, v133, vcc
                                        ; kill: killed $vgpr14 killed $vgpr15
                                        ; kill: killed $vgpr16 killed $vgpr17
	s_waitcnt vmcnt(0)
	v_mul_f64 v[10:11], v[8:9], v[22:23]
	v_fmac_f64_e32 v[10:11], v[6:7], v[20:21]
	v_mul_f64 v[6:7], v[6:7], v[22:23]
	scratch_store_dwordx4 off, v[20:23], off offset:224 ; 16-byte Folded Spill
	v_fma_f64 v[12:13], v[8:9], v[20:21], -v[6:7]
	global_load_dwordx4 v[6:9], v[2:3], off
	global_load_dwordx4 v[20:23], v[16:17], off offset:1088
	ds_write_b128 v252, v[10:13] offset:38016
	v_mad_u64_u32 v[2:3], s[4:5], s8, v254, v[2:3]
	v_add_u32_e32 v3, s2, v3
	s_waitcnt vmcnt(0)
	v_mul_f64 v[10:11], v[8:9], v[22:23]
	v_fmac_f64_e32 v[10:11], v[6:7], v[20:21]
	v_mul_f64 v[6:7], v[6:7], v[22:23]
	v_fma_f64 v[12:13], v[8:9], v[20:21], -v[6:7]
	scratch_store_dwordx4 off, v[20:23], off offset:240 ; 16-byte Folded Spill
	ds_write_b128 v252, v[10:13] offset:5184
	global_load_dwordx4 v[6:9], v[2:3], off
	global_load_dwordx4 v[20:23], v[0:1], off offset:1984
	v_mad_u64_u32 v[2:3], s[4:5], s8, v254, v[2:3]
	v_add_u32_e32 v3, s2, v3
	s_mov_b64 s[4:5], 0x1b0
	v_lshl_add_u64 v[142:143], v[162:163], 0, s[4:5]
	s_waitcnt vmcnt(0)
	v_mul_f64 v[10:11], v[8:9], v[22:23]
	v_fmac_f64_e32 v[10:11], v[6:7], v[20:21]
	v_mul_f64 v[6:7], v[6:7], v[22:23]
	v_fma_f64 v[12:13], v[8:9], v[20:21], -v[6:7]
	scratch_store_dwordx4 off, v[20:23], off offset:256 ; 16-byte Folded Spill
	ds_write_b128 v252, v[10:13] offset:22464
	global_load_dwordx4 v[6:9], v[2:3], off
	global_load_dwordx4 v[20:23], v[14:15], off offset:2880
	v_mad_u64_u32 v[2:3], s[4:5], s8, v18, v[2:3]
	v_add_u32_e32 v3, s3, v3
	s_waitcnt vmcnt(0)
	v_mul_f64 v[10:11], v[8:9], v[22:23]
	v_fmac_f64_e32 v[10:11], v[6:7], v[20:21]
	v_mul_f64 v[6:7], v[6:7], v[22:23]
	v_fma_f64 v[12:13], v[8:9], v[20:21], -v[6:7]
	scratch_store_dwordx4 off, v[20:23], off offset:272 ; 16-byte Folded Spill
	ds_write_b128 v252, v[10:13] offset:39744
	global_load_dwordx4 v[6:9], v[2:3], off
	global_load_dwordx4 v[12:15], v[16:17], off offset:2816
	s_waitcnt vmcnt(0)
	v_mul_f64 v[10:11], v[8:9], v[14:15]
	v_fmac_f64_e32 v[10:11], v[6:7], v[12:13]
	v_mul_f64 v[6:7], v[6:7], v[14:15]
	scratch_store_dwordx4 off, v[12:15], off offset:288 ; 16-byte Folded Spill
	s_nop 1
	v_fma_f64 v[12:13], v[8:9], v[12:13], -v[6:7]
	ds_write_b128 v252, v[10:13] offset:6912
	v_mad_u64_u32 v[10:11], s[4:5], s8, v254, v[2:3]
	v_add_u32_e32 v11, s2, v11
	global_load_dwordx4 v[6:9], v[10:11], off
	global_load_dwordx4 v[12:15], v[0:1], off offset:3712
	v_mad_u64_u32 v[10:11], s[4:5], s8, v254, v[10:11]
	v_add_u32_e32 v11, s2, v11
	s_mov_b64 s[4:5], 0x21c
	v_lshl_add_u64 v[152:153], v[162:163], 0, s[4:5]
	s_waitcnt vmcnt(0)
	v_mul_f64 v[0:1], v[8:9], v[14:15]
	v_mul_f64 v[2:3], v[6:7], v[14:15]
	scratch_store_dwordx4 off, v[12:15], off offset:304 ; 16-byte Folded Spill
	v_fmac_f64_e32 v[0:1], v[6:7], v[12:13]
	v_fma_f64 v[2:3], v[8:9], v[12:13], -v[2:3]
	v_add_co_u32_e32 v12, vcc, s26, v132
	ds_write_b128 v252, v[0:3] offset:24192
	s_nop 0
	v_addc_co_u32_e32 v13, vcc, 0, v133, vcc
	global_load_dwordx4 v[0:3], v[10:11], off
	global_load_dwordx4 v[14:17], v[12:13], off offset:512
	v_mad_u64_u32 v[10:11], s[4:5], s8, v18, v[10:11]
	v_add_u32_e32 v11, s3, v11
                                        ; kill: killed $vgpr12 killed $vgpr13
	s_waitcnt vmcnt(0)
	v_mul_f64 v[6:7], v[2:3], v[16:17]
	v_fmac_f64_e32 v[6:7], v[0:1], v[14:15]
	v_mul_f64 v[0:1], v[0:1], v[16:17]
	scratch_store_dwordx4 off, v[14:17], off offset:320 ; 16-byte Folded Spill
	v_fma_f64 v[8:9], v[2:3], v[14:15], -v[0:1]
	global_load_dwordx4 v[0:3], v[10:11], off
	v_add_co_u32_e32 v14, vcc, s28, v132
	ds_write_b128 v252, v[6:9] offset:41472
	s_nop 0
	v_addc_co_u32_e32 v15, vcc, 0, v133, vcc
	global_load_dwordx4 v[20:23], v[14:15], off offset:448
	v_mad_u64_u32 v[10:11], s[4:5], s8, v254, v[10:11]
	v_add_co_u32_e32 v16, vcc, s27, v132
	v_add_u32_e32 v11, s2, v11
	s_nop 0
	v_addc_co_u32_e32 v17, vcc, 0, v133, vcc
                                        ; kill: killed $vgpr16 killed $vgpr17
                                        ; kill: killed $vgpr14 killed $vgpr15
	s_waitcnt vmcnt(0)
	v_mul_f64 v[6:7], v[2:3], v[22:23]
	v_fmac_f64_e32 v[6:7], v[0:1], v[20:21]
	v_mul_f64 v[0:1], v[0:1], v[22:23]
	scratch_store_dwordx4 off, v[20:23], off offset:336 ; 16-byte Folded Spill
	v_fma_f64 v[8:9], v[2:3], v[20:21], -v[0:1]
	global_load_dwordx4 v[0:3], v[10:11], off
	global_load_dwordx4 v[20:23], v[16:17], off offset:1344
	ds_write_b128 v252, v[6:9] offset:8640
	v_mad_u64_u32 v[10:11], s[4:5], s8, v254, v[10:11]
	v_add_u32_e32 v11, s2, v11
	s_mov_b64 s[4:5], 0x288
	v_lshl_add_u64 v[150:151], v[162:163], 0, s[4:5]
	s_waitcnt vmcnt(0)
	v_mul_f64 v[6:7], v[2:3], v[22:23]
	v_fmac_f64_e32 v[6:7], v[0:1], v[20:21]
	v_mul_f64 v[0:1], v[0:1], v[22:23]
	v_fma_f64 v[8:9], v[2:3], v[20:21], -v[0:1]
	scratch_store_dwordx4 off, v[20:23], off offset:400 ; 16-byte Folded Spill
	ds_write_b128 v252, v[6:9] offset:25920
	global_load_dwordx4 v[0:3], v[10:11], off
	global_load_dwordx4 v[20:23], v[12:13], off offset:2240
	v_mad_u64_u32 v[10:11], s[4:5], s8, v18, v[10:11]
	v_add_u32_e32 v11, s3, v11
	s_waitcnt vmcnt(0)
	v_mul_f64 v[6:7], v[2:3], v[22:23]
	v_fmac_f64_e32 v[6:7], v[0:1], v[20:21]
	v_mul_f64 v[0:1], v[0:1], v[22:23]
	v_fma_f64 v[8:9], v[2:3], v[20:21], -v[0:1]
	scratch_store_dwordx4 off, v[20:23], off offset:352 ; 16-byte Folded Spill
	ds_write_b128 v252, v[6:9] offset:43200
	global_load_dwordx4 v[0:3], v[10:11], off
	global_load_dwordx4 v[20:23], v[14:15], off offset:2176
	v_mad_u64_u32 v[10:11], s[4:5], s8, v254, v[10:11]
	v_add_u32_e32 v11, s2, v11
	;; [unrolled: 11-line block ×3, first 2 shown]
	s_mov_b64 s[4:5], 0x2f4
	v_lshl_add_u64 v[148:149], v[162:163], 0, s[4:5]
	s_waitcnt vmcnt(0)
	v_mul_f64 v[6:7], v[2:3], v[22:23]
	v_fmac_f64_e32 v[6:7], v[0:1], v[20:21]
	v_mul_f64 v[0:1], v[0:1], v[22:23]
	v_fma_f64 v[8:9], v[2:3], v[20:21], -v[0:1]
	scratch_store_dwordx4 off, v[20:23], off offset:368 ; 16-byte Folded Spill
	ds_write_b128 v252, v[6:9] offset:27648
	global_load_dwordx4 v[0:3], v[10:11], off
	global_load_dwordx4 v[20:23], v[12:13], off offset:3968
	v_mad_u64_u32 v[10:11], s[4:5], s8, v18, v[10:11]
	v_add_u32_e32 v11, s3, v11
	s_waitcnt vmcnt(0)
	v_mul_f64 v[6:7], v[2:3], v[22:23]
	v_fmac_f64_e32 v[6:7], v[0:1], v[20:21]
	v_mul_f64 v[0:1], v[0:1], v[22:23]
	v_fma_f64 v[8:9], v[2:3], v[20:21], -v[0:1]
	scratch_store_dwordx4 off, v[20:23], off offset:384 ; 16-byte Folded Spill
	ds_write_b128 v252, v[6:9] offset:44928
	global_load_dwordx4 v[0:3], v[10:11], off
	global_load_dwordx4 v[20:23], v[14:15], off offset:3904
	v_mad_u64_u32 v[10:11], s[4:5], s8, v254, v[10:11]
	s_movk_i32 s4, 0x7000
	s_nop 0
	v_add_co_u32_e32 v12, vcc, s4, v132
	v_add_u32_e32 v11, s2, v11
	s_nop 0
	v_addc_co_u32_e32 v13, vcc, 0, v133, vcc
	global_load_dwordx4 v[14:17], v[12:13], off offset:704
	s_waitcnt vmcnt(1)
	v_mul_f64 v[6:7], v[2:3], v[22:23]
	v_fmac_f64_e32 v[6:7], v[0:1], v[20:21]
	v_mul_f64 v[0:1], v[0:1], v[22:23]
	v_fma_f64 v[8:9], v[2:3], v[20:21], -v[0:1]
	global_load_dwordx4 v[0:3], v[10:11], off
	ds_write_b128 v252, v[6:9] offset:12096
	v_mad_u64_u32 v[10:11], s[4:5], s8, v254, v[10:11]
	s_mov_b32 s4, 0xb000
	s_waitcnt vmcnt(1)
	scratch_store_dwordx4 off, v[14:17], off offset:448 ; 16-byte Folded Spill
	v_add_u32_e32 v11, s2, v11
	scratch_store_dwordx4 off, v[20:23], off offset:432 ; 16-byte Folded Spill
	s_waitcnt vmcnt(2)
	v_mul_f64 v[6:7], v[2:3], v[16:17]
	v_fmac_f64_e32 v[6:7], v[0:1], v[14:15]
	v_mul_f64 v[0:1], v[0:1], v[16:17]
	v_fma_f64 v[8:9], v[2:3], v[14:15], -v[0:1]
	v_add_co_u32_e32 v14, vcc, s4, v132
	global_load_dwordx4 v[0:3], v[10:11], off
	s_nop 0
	v_addc_co_u32_e32 v15, vcc, 0, v133, vcc
	global_load_dwordx4 v[20:23], v[14:15], off offset:1600
	s_mov_b64 s[4:5], 0x360
	v_lshl_add_u64 v[146:147], v[162:163], 0, s[4:5]
	v_mad_u64_u32 v[10:11], s[4:5], s8, v18, v[10:11]
	s_movk_i32 s4, 0x3000
	ds_write_b128 v252, v[6:9] offset:29376
	v_add_co_u32_e32 v16, vcc, s4, v132
	v_add_u32_e32 v11, s3, v11
	s_nop 0
	v_addc_co_u32_e32 v17, vcc, 0, v133, vcc
	s_waitcnt vmcnt(0)
	v_mul_f64 v[6:7], v[2:3], v[22:23]
	v_fmac_f64_e32 v[6:7], v[0:1], v[20:21]
	v_mul_f64 v[0:1], v[0:1], v[22:23]
	scratch_store_dwordx4 off, v[20:23], off offset:464 ; 16-byte Folded Spill
	v_fma_f64 v[8:9], v[2:3], v[20:21], -v[0:1]
	global_load_dwordx4 v[0:3], v[10:11], off
	global_load_dwordx4 v[20:23], v[16:17], off offset:1536
	ds_write_b128 v252, v[6:9] offset:46656
	v_mad_u64_u32 v[10:11], s[4:5], s8, v254, v[10:11]
	v_add_u32_e32 v11, s2, v11
	s_waitcnt vmcnt(0)
	v_mul_f64 v[6:7], v[2:3], v[22:23]
	v_fmac_f64_e32 v[6:7], v[0:1], v[20:21]
	v_mul_f64 v[0:1], v[0:1], v[22:23]
	v_fma_f64 v[8:9], v[2:3], v[20:21], -v[0:1]
	scratch_store_dwordx4 off, v[20:23], off offset:528 ; 16-byte Folded Spill
	ds_write_b128 v252, v[6:9] offset:13824
	global_load_dwordx4 v[0:3], v[10:11], off
	global_load_dwordx4 v[20:23], v[12:13], off offset:2432
	v_mad_u64_u32 v[10:11], s[4:5], s8, v254, v[10:11]
	v_add_u32_e32 v11, s2, v11
	s_mov_b64 s[4:5], 0x3cc
	v_lshl_add_u64 v[144:145], v[162:163], 0, s[4:5]
	s_waitcnt vmcnt(0)
	v_mul_f64 v[6:7], v[2:3], v[22:23]
	v_fmac_f64_e32 v[6:7], v[0:1], v[20:21]
	v_mul_f64 v[0:1], v[0:1], v[22:23]
	v_fma_f64 v[8:9], v[2:3], v[20:21], -v[0:1]
	scratch_store_dwordx4 off, v[20:23], off offset:496 ; 16-byte Folded Spill
	ds_write_b128 v252, v[6:9] offset:31104
	global_load_dwordx4 v[0:3], v[10:11], off
	s_nop 0
	global_load_dwordx4 v[12:15], v[14:15], off offset:3328
	v_mad_u64_u32 v[10:11], s[4:5], s8, v18, v[10:11]
	v_add_u32_e32 v11, s3, v11
	s_waitcnt vmcnt(0)
	v_mul_f64 v[6:7], v[2:3], v[14:15]
	v_fmac_f64_e32 v[6:7], v[0:1], v[12:13]
	v_mul_f64 v[0:1], v[0:1], v[14:15]
	v_fma_f64 v[8:9], v[2:3], v[12:13], -v[0:1]
	scratch_store_dwordx4 off, v[12:15], off offset:480 ; 16-byte Folded Spill
	ds_write_b128 v252, v[6:9] offset:48384
	global_load_dwordx4 v[0:3], v[10:11], off
	global_load_dwordx4 v[12:15], v[16:17], off offset:3264
	s_waitcnt vmcnt(0)
	v_mul_f64 v[6:7], v[2:3], v[14:15]
	v_fmac_f64_e32 v[6:7], v[0:1], v[12:13]
	v_mul_f64 v[0:1], v[0:1], v[14:15]
	v_fma_f64 v[8:9], v[2:3], v[12:13], -v[0:1]
	ds_write_b128 v252, v[6:9] offset:15552
	v_mad_u64_u32 v[6:7], s[4:5], s8, v254, v[10:11]
	scratch_store_dwordx4 off, v[12:15], off offset:512 ; 16-byte Folded Spill
	v_add_u32_e32 v7, s2, v7
	global_load_dwordx4 v[0:3], v[6:7], off
	global_load_dwordx4 v[10:13], v[4:5], off offset:64
	s_waitcnt vmcnt(0)
	v_mul_f64 v[8:9], v[2:3], v[12:13]
	v_fmac_f64_e32 v[8:9], v[0:1], v[10:11]
	v_mul_f64 v[0:1], v[0:1], v[12:13]
	scratch_store_dwordx4 off, v[10:13], off offset:544 ; 16-byte Folded Spill
	s_nop 1
	v_fma_f64 v[10:11], v[2:3], v[10:11], -v[0:1]
	v_mad_u64_u32 v[0:1], s[4:5], s8, v254, v[6:7]
	v_add_u32_e32 v1, s2, v1
	s_mov_b32 s2, 0xc000
	ds_write_b128 v252, v[8:11] offset:32832
	v_add_co_u32_e32 v8, vcc, s2, v132
	global_load_dwordx4 v[0:3], v[0:1], off
	s_nop 0
	v_addc_co_u32_e32 v9, vcc, 0, v133, vcc
	global_load_dwordx4 v[4:7], v[8:9], off offset:960
	v_accvgpr_write_b32 a149, v9
	v_accvgpr_write_b32 a148, v8
	s_mov_b32 s2, 0xe8584caa
	s_mov_b32 s3, 0x3febb67a
	;; [unrolled: 1-line block ×4, first 2 shown]
	s_movk_i32 s8, 0xab
	v_cmp_gt_u16_e32 vcc, s29, v162
	s_waitcnt vmcnt(0)
	v_mov_b64_e32 v[8:9], v[6:7]
	v_mov_b64_e32 v[6:7], v[4:5]
	v_mul_f64 v[4:5], v[2:3], v[8:9]
	v_fmac_f64_e32 v[4:5], v[0:1], v[6:7]
	v_mul_f64 v[0:1], v[0:1], v[8:9]
	scratch_store_dwordx4 off, v[6:9], off offset:128 ; 16-byte Folded Spill
	s_nop 1
	v_fma_f64 v[6:7], v[2:3], v[6:7], -v[0:1]
	ds_write_b128 v252, v[4:7] offset:50112
	s_waitcnt lgkmcnt(0)
	s_barrier
	ds_read_b128 v[36:39], v252
	ds_read_b128 v[62:65], v252 offset:17280
	ds_read_b128 v[108:111], v252 offset:34560
	;; [unrolled: 1-line block ×29, first 2 shown]
	s_waitcnt lgkmcnt(14)
	v_add_f64 v[52:53], v[36:37], v[62:63]
	v_add_f64 v[104:105], v[52:53], v[108:109]
	v_add_f64 v[52:53], v[62:63], v[108:109]
	v_fmac_f64_e32 v[36:37], -0.5, v[52:53]
	v_add_f64 v[52:53], v[64:65], -v[110:111]
	v_fma_f64 v[100:101], s[2:3], v[52:53], v[36:37]
	v_fmac_f64_e32 v[36:37], s[4:5], v[52:53]
	v_add_f64 v[52:53], v[38:39], v[64:65]
	v_add_f64 v[106:107], v[52:53], v[110:111]
	v_add_f64 v[52:53], v[64:65], v[110:111]
	v_fmac_f64_e32 v[38:39], -0.5, v[52:53]
	v_add_f64 v[52:53], v[62:63], -v[108:109]
	v_fma_f64 v[102:103], s[4:5], v[52:53], v[38:39]
	v_fmac_f64_e32 v[38:39], s[2:3], v[52:53]
	;; [unrolled: 7-line block ×3, first 2 shown]
	v_add_f64 v[52:53], v[34:35], v[42:43]
	v_add_f64 v[42:43], v[42:43], v[46:47]
	v_fmac_f64_e32 v[34:35], -0.5, v[42:43]
	v_add_f64 v[40:41], v[40:41], -v[44:45]
	v_fma_f64 v[66:67], s[4:5], v[40:41], v[34:35]
	v_fmac_f64_e32 v[34:35], s[2:3], v[40:41]
	v_add_f64 v[40:41], v[0:1], v[48:49]
	v_add_f64 v[44:45], v[40:41], v[128:129]
	v_add_f64 v[40:41], v[48:49], v[128:129]
	v_fmac_f64_e32 v[0:1], -0.5, v[40:41]
	v_add_f64 v[42:43], v[50:51], -v[130:131]
	v_fma_f64 v[40:41], s[2:3], v[42:43], v[0:1]
	v_fmac_f64_e32 v[0:1], s[4:5], v[42:43]
	v_add_f64 v[42:43], v[2:3], v[50:51]
	v_add_f64 v[110:111], v[52:53], v[46:47]
	;; [unrolled: 1-line block ×4, first 2 shown]
	v_fmac_f64_e32 v[2:3], -0.5, v[42:43]
	v_add_f64 v[48:49], v[48:49], -v[128:129]
	v_add_f64 v[50:51], v[54:55], v[58:59]
	v_fma_f64 v[42:43], s[4:5], v[48:49], v[2:3]
	v_fmac_f64_e32 v[2:3], s[2:3], v[48:49]
	v_add_f64 v[48:49], v[4:5], v[54:55]
	v_fmac_f64_e32 v[4:5], -0.5, v[50:51]
	v_add_f64 v[50:51], v[56:57], -v[60:61]
	v_fma_f64 v[52:53], s[2:3], v[50:51], v[4:5]
	v_fmac_f64_e32 v[4:5], s[4:5], v[50:51]
	v_add_f64 v[50:51], v[6:7], v[56:57]
	v_add_f64 v[56:57], v[56:57], v[60:61]
	;; [unrolled: 1-line block ×3, first 2 shown]
	v_fmac_f64_e32 v[6:7], -0.5, v[56:57]
	v_add_f64 v[56:57], v[54:55], -v[58:59]
	v_add_f64 v[58:59], v[76:77], v[80:81]
	v_fma_f64 v[54:55], s[4:5], v[56:57], v[6:7]
	v_fmac_f64_e32 v[6:7], s[2:3], v[56:57]
	v_add_f64 v[56:57], v[8:9], v[76:77]
	v_fmac_f64_e32 v[8:9], -0.5, v[58:59]
	v_add_f64 v[58:59], v[78:79], -v[82:83]
	v_add_f64 v[62:63], v[78:79], v[82:83]
	v_add_f64 v[50:51], v[50:51], v[60:61]
	v_fma_f64 v[60:61], s[2:3], v[58:59], v[8:9]
	v_fmac_f64_e32 v[8:9], s[4:5], v[58:59]
	v_add_f64 v[58:59], v[10:11], v[78:79]
	v_fmac_f64_e32 v[10:11], -0.5, v[62:63]
	v_add_f64 v[76:77], v[76:77], -v[80:81]
	v_fma_f64 v[62:63], s[4:5], v[76:77], v[10:11]
	v_fmac_f64_e32 v[10:11], s[2:3], v[76:77]
	s_waitcnt lgkmcnt(13)
	v_add_f64 v[76:77], v[20:21], v[84:85]
	v_add_f64 v[56:57], v[56:57], v[80:81]
	s_waitcnt lgkmcnt(12)
	v_add_f64 v[80:81], v[76:77], v[88:89]
	v_add_f64 v[76:77], v[84:85], v[88:89]
	v_fmac_f64_e32 v[20:21], -0.5, v[76:77]
	v_add_f64 v[78:79], v[86:87], -v[90:91]
	v_fma_f64 v[76:77], s[2:3], v[78:79], v[20:21]
	v_fmac_f64_e32 v[20:21], s[4:5], v[78:79]
	v_add_f64 v[78:79], v[22:23], v[86:87]
	v_add_f64 v[58:59], v[58:59], v[82:83]
	;; [unrolled: 1-line block ×4, first 2 shown]
	v_fmac_f64_e32 v[22:23], -0.5, v[78:79]
	v_add_f64 v[84:85], v[84:85], -v[88:89]
	v_fma_f64 v[78:79], s[4:5], v[84:85], v[22:23]
	v_fmac_f64_e32 v[22:23], s[2:3], v[84:85]
	s_waitcnt lgkmcnt(10)
	v_add_f64 v[84:85], v[28:29], v[112:113]
	s_waitcnt lgkmcnt(9)
	v_add_f64 v[88:89], v[84:85], v[116:117]
	v_add_f64 v[84:85], v[112:113], v[116:117]
	v_fmac_f64_e32 v[28:29], -0.5, v[84:85]
	v_add_f64 v[86:87], v[114:115], -v[118:119]
	v_fma_f64 v[84:85], s[2:3], v[86:87], v[28:29]
	v_fmac_f64_e32 v[28:29], s[4:5], v[86:87]
	v_add_f64 v[86:87], v[30:31], v[114:115]
	v_add_f64 v[90:91], v[86:87], v[118:119]
	;; [unrolled: 1-line block ×3, first 2 shown]
	v_fmac_f64_e32 v[30:31], -0.5, v[86:87]
	v_add_f64 v[112:113], v[112:113], -v[116:117]
	v_fma_f64 v[86:87], s[4:5], v[112:113], v[30:31]
	v_fmac_f64_e32 v[30:31], s[2:3], v[112:113]
	s_waitcnt lgkmcnt(7)
	v_add_f64 v[112:113], v[24:25], v[120:121]
	s_waitcnt lgkmcnt(6)
	v_add_f64 v[116:117], v[112:113], v[124:125]
	v_add_f64 v[112:113], v[120:121], v[124:125]
	v_fmac_f64_e32 v[24:25], -0.5, v[112:113]
	v_add_f64 v[114:115], v[122:123], -v[126:127]
	v_fma_f64 v[112:113], s[2:3], v[114:115], v[24:25]
	v_fmac_f64_e32 v[24:25], s[4:5], v[114:115]
	v_add_f64 v[114:115], v[26:27], v[122:123]
	v_add_f64 v[118:119], v[114:115], v[126:127]
	;; [unrolled: 1-line block ×3, first 2 shown]
	v_fmac_f64_e32 v[26:27], -0.5, v[114:115]
	v_add_f64 v[120:121], v[120:121], -v[124:125]
	v_fma_f64 v[114:115], s[4:5], v[120:121], v[26:27]
	v_fmac_f64_e32 v[26:27], s[2:3], v[120:121]
	s_waitcnt lgkmcnt(4)
	v_add_f64 v[120:121], v[16:17], v[92:93]
	s_waitcnt lgkmcnt(3)
	v_add_f64 v[124:125], v[120:121], v[96:97]
	v_add_f64 v[120:121], v[92:93], v[96:97]
	v_fmac_f64_e32 v[16:17], -0.5, v[120:121]
	v_add_f64 v[122:123], v[94:95], -v[98:99]
	v_fma_f64 v[120:121], s[2:3], v[122:123], v[16:17]
	v_fmac_f64_e32 v[16:17], s[4:5], v[122:123]
	v_add_f64 v[122:123], v[18:19], v[94:95]
	v_add_f64 v[94:95], v[94:95], v[98:99]
	v_fmac_f64_e32 v[18:19], -0.5, v[94:95]
	v_add_f64 v[92:93], v[92:93], -v[96:97]
	v_add_f64 v[126:127], v[122:123], v[98:99]
	v_fma_f64 v[122:123], s[4:5], v[92:93], v[18:19]
	v_fmac_f64_e32 v[18:19], s[2:3], v[92:93]
	s_waitcnt lgkmcnt(1)
	v_add_f64 v[92:93], v[12:13], v[68:69]
	s_waitcnt lgkmcnt(0)
	v_add_f64 v[96:97], v[92:93], v[72:73]
	v_add_f64 v[92:93], v[68:69], v[72:73]
	v_fmac_f64_e32 v[12:13], -0.5, v[92:93]
	v_add_f64 v[94:95], v[70:71], -v[74:75]
	v_fma_f64 v[92:93], s[2:3], v[94:95], v[12:13]
	v_fmac_f64_e32 v[12:13], s[4:5], v[94:95]
	v_add_f64 v[94:95], v[14:15], v[70:71]
	v_add_f64 v[70:71], v[70:71], v[74:75]
	v_fmac_f64_e32 v[14:15], -0.5, v[70:71]
	v_add_f64 v[68:69], v[68:69], -v[72:73]
	v_add_f64 v[98:99], v[94:95], v[74:75]
	v_fma_f64 v[94:95], s[4:5], v[68:69], v[14:15]
	v_fmac_f64_e32 v[14:15], s[2:3], v[68:69]
	v_mul_lo_u16_e32 v68, 3, v162
	v_lshlrev_b32_e32 v68, 4, v68
	s_barrier
	ds_write_b128 v68, v[104:107]
	scratch_store_dword off, v68, off       ; 4-byte Folded Spill
	ds_write_b128 v68, v[100:103] offset:16
	ds_write_b128 v68, v[36:39] offset:32
	v_mul_u32_u24_e32 v36, 3, v136
	v_lshlrev_b32_e32 v36, 4, v36
	ds_write_b128 v36, v[108:111]
	scratch_store_dword off, v36, off offset:16 ; 4-byte Folded Spill
	ds_write_b128 v36, v[64:67] offset:16
	ds_write_b128 v36, v[32:35] offset:32
	v_mul_u32_u24_e32 v32, 3, v134
	v_lshlrev_b32_e32 v32, 4, v32
	ds_write_b128 v32, v[44:47]
	scratch_store_dword off, v32, off offset:36 ; 4-byte Folded Spill
	ds_write_b128 v32, v[40:43] offset:16
	ds_write_b128 v32, v[0:3] offset:32
	v_mul_u32_u24_e32 v0, 3, v138
	v_lshlrev_b32_e32 v0, 4, v0
	scratch_store_dword off, v0, off offset:32 ; 4-byte Folded Spill
	ds_write_b128 v0, v[48:51]
	ds_write_b128 v0, v[52:55] offset:16
	ds_write_b128 v0, v[4:7] offset:32
	v_mul_u32_u24_e32 v0, 3, v142
	v_lshlrev_b32_e32 v0, 4, v0
	scratch_store_dword off, v0, off offset:28 ; 4-byte Folded Spill
	ds_write_b128 v0, v[56:59]
	;; [unrolled: 6-line block ×6, first 2 shown]
	ds_write_b128 v0, v[120:123] offset:16
	ds_write_b128 v0, v[16:19] offset:32
	v_mul_lo_u16_sdwa v120, v162, s8 dst_sel:DWORD dst_unused:UNUSED_PAD src0_sel:BYTE_0 src1_sel:DWORD
	v_lshrrev_b16_e32 v149, 9, v120
	v_mul_lo_u16_e32 v120, 3, v149
	v_sub_u16_e32 v120, v162, v120
	v_mul_u32_u24_e32 v0, 3, v144
	v_and_b32_e32 v163, 0xff, v120
	v_lshlrev_b32_e32 v0, 4, v0
	v_lshlrev_b32_e32 v120, 5, v163
	scratch_store_dword off, v0, off offset:4 ; 4-byte Folded Spill
	ds_write_b128 v0, v[96:99]
	ds_write_b128 v0, v[92:95] offset:16
	ds_write_b128 v0, v[12:15] offset:32
	s_waitcnt lgkmcnt(0)
	s_barrier
	ds_read_b128 v[36:39], v252
	ds_read_b128 v[116:119], v252 offset:17280
	ds_read_b128 v[112:115], v252 offset:34560
	;; [unrolled: 1-line block ×29, first 2 shown]
	global_load_dwordx4 v[124:127], v120, s[6:7] offset:16
	global_load_dwordx4 v[128:131], v120, s[6:7]
	s_waitcnt vmcnt(0) lgkmcnt(14)
	v_mul_f64 v[120:121], v[118:119], v[130:131]
	v_mul_f64 v[122:123], v[116:117], v[130:131]
	scratch_store_dwordx4 off, v[128:131], off offset:588 ; 16-byte Folded Spill
	v_fma_f64 v[120:121], v[116:117], v[128:129], -v[120:121]
	v_fmac_f64_e32 v[122:123], v[118:119], v[128:129]
	v_mov_b64_e32 v[128:129], v[126:127]
	v_mov_b64_e32 v[126:127], v[124:125]
	v_mul_f64 v[116:117], v[114:115], v[128:129]
	v_fma_f64 v[124:125], v[112:113], v[126:127], -v[116:117]
	v_mul_f64 v[112:113], v[112:113], v[128:129]
	v_fmac_f64_e32 v[112:113], v[114:115], v[126:127]
	v_mul_lo_u16_sdwa v114, v136, s8 dst_sel:DWORD dst_unused:UNUSED_PAD src0_sel:BYTE_0 src1_sel:DWORD
	v_lshrrev_b16_e32 v135, 9, v114
	v_mul_lo_u16_e32 v114, 3, v135
	v_sub_u16_e32 v114, v136, v114
	v_and_b32_e32 v139, 0xff, v114
	scratch_store_dwordx4 off, v[126:129], off offset:560 ; 16-byte Folded Spill
	v_lshlrev_b32_e32 v114, 5, v139
	global_load_dwordx4 v[116:119], v114, s[6:7] offset:16
	global_load_dwordx4 v[154:157], v114, s[6:7]
	s_mov_b32 s8, 0xaaab
	s_waitcnt vmcnt(1)
	v_mul_f64 v[140:141], v[104:105], v[118:119]
	s_waitcnt vmcnt(0)
	v_mul_f64 v[114:115], v[110:111], v[156:157]
	v_fma_f64 v[126:127], v[108:109], v[154:155], -v[114:115]
	v_mul_f64 v[128:129], v[108:109], v[156:157]
	v_mul_f64 v[108:109], v[106:107], v[118:119]
	v_fma_f64 v[130:131], v[104:105], v[116:117], -v[108:109]
	v_mul_u32_u24_sdwa v104, v134, s8 dst_sel:DWORD dst_unused:UNUSED_PAD src0_sel:WORD_0 src1_sel:DWORD
	v_lshrrev_b32_e32 v137, 17, v104
	v_mul_lo_u16_e32 v104, 3, v137
	v_sub_u16_e32 v143, v134, v104
	v_lshlrev_b16_e32 v104, 1, v143
	scratch_store_dwordx4 off, v[154:157], off offset:620 ; 16-byte Folded Spill
	scratch_store_dwordx4 off, v[116:119], off offset:604 ; 16-byte Folded Spill
	v_lshlrev_b32_e32 v104, 4, v104
	v_fmac_f64_e32 v[140:141], v[106:107], v[116:117]
	global_load_dwordx4 v[106:109], v104, s[6:7] offset:16
	global_load_dwordx4 v[114:117], v104, s[6:7]
	v_fmac_f64_e32 v[128:129], v[110:111], v[154:155]
	s_waitcnt vmcnt(1)
	v_mul_f64 v[160:161], v[96:97], v[108:109]
	s_waitcnt vmcnt(0)
	v_mul_f64 v[104:105], v[102:103], v[116:117]
	v_fma_f64 v[154:155], v[100:101], v[114:115], -v[104:105]
	v_mul_f64 v[156:157], v[100:101], v[116:117]
	v_mul_f64 v[100:101], v[98:99], v[108:109]
	v_fma_f64 v[158:159], v[96:97], v[106:107], -v[100:101]
	v_mul_u32_u24_sdwa v96, v138, s8 dst_sel:DWORD dst_unused:UNUSED_PAD src0_sel:WORD_0 src1_sel:DWORD
	v_lshrrev_b32_e32 v145, 17, v96
	v_mul_lo_u16_e32 v96, 3, v145
	v_sub_u16_e32 v147, v138, v96
	v_lshlrev_b16_e32 v96, 1, v147
	scratch_store_dwordx4 off, v[114:117], off offset:652 ; 16-byte Folded Spill
	scratch_store_dwordx4 off, v[106:109], off offset:636 ; 16-byte Folded Spill
	v_lshlrev_b32_e32 v96, 4, v96
	v_fmac_f64_e32 v[156:157], v[102:103], v[114:115]
	v_fmac_f64_e32 v[160:161], v[98:99], v[106:107]
	global_load_dwordx4 v[98:101], v96, s[6:7] offset:16
	global_load_dwordx4 v[102:105], v96, s[6:7]
	s_waitcnt vmcnt(1)
	v_mul_f64 v[170:171], v[88:89], v[100:101]
	s_waitcnt vmcnt(0)
	v_mul_f64 v[96:97], v[94:95], v[104:105]
	v_fma_f64 v[164:165], v[92:93], v[102:103], -v[96:97]
	v_mul_f64 v[166:167], v[92:93], v[104:105]
	v_mul_f64 v[92:93], v[90:91], v[100:101]
	v_fma_f64 v[168:169], v[88:89], v[98:99], -v[92:93]
	v_mul_u32_u24_sdwa v88, v142, s8 dst_sel:DWORD dst_unused:UNUSED_PAD src0_sel:WORD_0 src1_sel:DWORD
	v_lshrrev_b32_e32 v195, 17, v88
	v_mul_lo_u16_e32 v88, 3, v195
	v_sub_u16_e32 v196, v142, v88
	v_lshlrev_b16_e32 v88, 1, v196
	scratch_store_dwordx4 off, v[102:105], off offset:684 ; 16-byte Folded Spill
	scratch_store_dwordx4 off, v[98:101], off offset:668 ; 16-byte Folded Spill
	v_lshlrev_b32_e32 v88, 4, v88
	v_fmac_f64_e32 v[166:167], v[94:95], v[102:103]
	v_fmac_f64_e32 v[170:171], v[90:91], v[98:99]
	global_load_dwordx4 v[90:93], v88, s[6:7] offset:16
	global_load_dwordx4 v[94:97], v88, s[6:7]
	;; [unrolled: 20-line block ×3, first 2 shown]
	s_waitcnt vmcnt(1) lgkmcnt(12)
	v_mul_f64 v[184:185], v[72:73], v[84:85]
	s_waitcnt vmcnt(0)
	v_mul_f64 v[80:81], v[78:79], v[88:89]
	v_fma_f64 v[152:153], v[76:77], v[86:87], -v[80:81]
	v_mul_f64 v[180:181], v[76:77], v[88:89]
	v_mul_f64 v[76:77], v[74:75], v[84:85]
	v_fma_f64 v[182:183], v[72:73], v[82:83], -v[76:77]
	v_mul_u32_u24_sdwa v72, v150, s8 dst_sel:DWORD dst_unused:UNUSED_PAD src0_sel:WORD_0 src1_sel:DWORD
	v_lshrrev_b32_e32 v197, 17, v72
	v_mul_lo_u16_e32 v72, 3, v197
	v_sub_u16_e32 v198, v150, v72
	v_lshlrev_b16_e32 v72, 1, v198
	scratch_store_dwordx4 off, v[86:89], off offset:732 ; 16-byte Folded Spill
	scratch_store_dwordx4 off, v[82:85], off offset:748 ; 16-byte Folded Spill
	v_lshlrev_b32_e32 v72, 4, v72
	v_fmac_f64_e32 v[180:181], v[78:79], v[86:87]
	v_fmac_f64_e32 v[184:185], v[74:75], v[82:83]
	global_load_dwordx4 v[74:77], v72, s[6:7] offset:16
	global_load_dwordx4 v[78:81], v72, s[6:7]
	s_waitcnt vmcnt(1) lgkmcnt(9)
	v_mul_f64 v[190:191], v[64:65], v[76:77]
	s_waitcnt vmcnt(0)
	v_mul_f64 v[72:73], v[70:71], v[80:81]
	v_fma_f64 v[150:151], v[68:69], v[78:79], -v[72:73]
	v_mul_f64 v[186:187], v[68:69], v[80:81]
	v_mul_f64 v[68:69], v[66:67], v[76:77]
	v_fma_f64 v[188:189], v[64:65], v[74:75], -v[68:69]
	v_mul_u32_u24_sdwa v64, v148, s8 dst_sel:DWORD dst_unused:UNUSED_PAD src0_sel:WORD_0 src1_sel:DWORD
	v_lshrrev_b32_e32 v193, 17, v64
	v_mul_lo_u16_e32 v64, 3, v193
	v_sub_u16_e32 v194, v148, v64
	v_lshlrev_b16_e32 v64, 1, v194
	scratch_store_dwordx4 off, v[78:81], off offset:764 ; 16-byte Folded Spill
	v_lshlrev_b32_e32 v64, 4, v64
	v_fmac_f64_e32 v[186:187], v[70:71], v[78:79]
	v_fmac_f64_e32 v[190:191], v[66:67], v[74:75]
	global_load_dwordx4 v[66:69], v64, s[6:7] offset:16
	global_load_dwordx4 v[70:73], v64, s[6:7]
	v_accvgpr_write_b32 a223, v77
	v_accvgpr_write_b32 a222, v76
	;; [unrolled: 1-line block ×4, first 2 shown]
	s_waitcnt vmcnt(1) lgkmcnt(6)
	v_mul_f64 v[208:209], v[56:57], v[68:69]
	s_waitcnt vmcnt(0)
	v_mul_f64 v[64:65], v[62:63], v[72:73]
	v_fma_f64 v[202:203], v[60:61], v[70:71], -v[64:65]
	v_mul_f64 v[204:205], v[60:61], v[72:73]
	v_mul_f64 v[60:61], v[58:59], v[68:69]
	v_fma_f64 v[206:207], v[56:57], v[66:67], -v[60:61]
	v_mul_u32_u24_sdwa v56, v146, s8 dst_sel:DWORD dst_unused:UNUSED_PAD src0_sel:WORD_0 src1_sel:DWORD
	v_lshrrev_b32_e32 v148, 17, v56
	v_mul_lo_u16_e32 v56, 3, v148
	v_sub_u16_e32 v192, v146, v56
	v_lshlrev_b16_e32 v56, 1, v192
	v_lshlrev_b32_e32 v56, 4, v56
	v_fmac_f64_e32 v[204:205], v[62:63], v[70:71]
	v_fmac_f64_e32 v[208:209], v[58:59], v[66:67]
	global_load_dwordx4 v[58:61], v56, s[6:7] offset:16
	global_load_dwordx4 v[62:65], v56, s[6:7]
	v_accvgpr_write_b32 a219, v73
	v_accvgpr_write_b32 a218, v72
	;; [unrolled: 1-line block ×8, first 2 shown]
	s_waitcnt vmcnt(1) lgkmcnt(3)
	v_mul_f64 v[216:217], v[48:49], v[60:61]
	s_waitcnt vmcnt(0)
	v_mul_f64 v[56:57], v[54:55], v[64:65]
	v_fma_f64 v[210:211], v[52:53], v[62:63], -v[56:57]
	v_mul_f64 v[212:213], v[52:53], v[64:65]
	v_mul_f64 v[52:53], v[50:51], v[60:61]
	v_fma_f64 v[214:215], v[48:49], v[58:59], -v[52:53]
	v_mul_u32_u24_sdwa v48, v144, s8 dst_sel:DWORD dst_unused:UNUSED_PAD src0_sel:WORD_0 src1_sel:DWORD
	v_lshrrev_b32_e32 v146, 17, v48
	v_mul_lo_u16_e32 v48, 3, v146
	v_sub_u16_e32 v144, v144, v48
	v_lshlrev_b16_e32 v48, 1, v144
	v_lshlrev_b32_e32 v48, 4, v48
	v_fmac_f64_e32 v[212:213], v[54:55], v[62:63]
	v_fmac_f64_e32 v[216:217], v[50:51], v[58:59]
	global_load_dwordx4 v[50:53], v48, s[6:7] offset:16
	global_load_dwordx4 v[54:57], v48, s[6:7]
	v_accvgpr_write_b32 a201, v65
	v_accvgpr_write_b32 a200, v64
	;; [unrolled: 1-line block ×8, first 2 shown]
	s_waitcnt lgkmcnt(0)
	s_barrier
	s_movk_i32 s8, 0x90
	s_waitcnt vmcnt(1)
	v_mul_f64 v[224:225], v[40:41], v[52:53]
	s_waitcnt vmcnt(0)
	v_mul_f64 v[48:49], v[46:47], v[56:57]
	v_fma_f64 v[218:219], v[44:45], v[54:55], -v[48:49]
	v_mul_f64 v[220:221], v[44:45], v[56:57]
	v_mul_f64 v[44:45], v[42:43], v[52:53]
	v_fma_f64 v[222:223], v[40:41], v[50:51], -v[44:45]
	v_add_f64 v[40:41], v[36:37], v[120:121]
	v_add_f64 v[116:117], v[40:41], v[124:125]
	v_add_f64 v[40:41], v[120:121], v[124:125]
	v_fmac_f64_e32 v[36:37], -0.5, v[40:41]
	v_add_f64 v[40:41], v[122:123], -v[112:113]
	v_fma_f64 v[108:109], s[2:3], v[40:41], v[36:37]
	v_fmac_f64_e32 v[36:37], s[4:5], v[40:41]
	v_add_f64 v[40:41], v[38:39], v[122:123]
	v_add_f64 v[118:119], v[40:41], v[112:113]
	v_add_f64 v[40:41], v[122:123], v[112:113]
	v_fmac_f64_e32 v[38:39], -0.5, v[40:41]
	v_add_f64 v[40:41], v[120:121], -v[124:125]
	v_fma_f64 v[110:111], s[4:5], v[40:41], v[38:39]
	v_fmac_f64_e32 v[38:39], s[2:3], v[40:41]
	;; [unrolled: 7-line block ×14, first 2 shown]
	v_add_f64 v[40:41], v[8:9], v[202:203]
	v_add_f64 v[60:61], v[40:41], v[206:207]
	;; [unrolled: 1-line block ×3, first 2 shown]
	v_accvgpr_write_b32 a211, v57
	v_fmac_f64_e32 v[8:9], -0.5, v[40:41]
	v_add_f64 v[40:41], v[204:205], -v[208:209]
	v_accvgpr_write_b32 a210, v56
	v_accvgpr_write_b32 a209, v55
	;; [unrolled: 1-line block ×3, first 2 shown]
	v_fma_f64 v[56:57], s[2:3], v[40:41], v[8:9]
	v_fmac_f64_e32 v[8:9], s[4:5], v[40:41]
	v_add_f64 v[40:41], v[10:11], v[204:205]
	v_add_f64 v[62:63], v[40:41], v[208:209]
	;; [unrolled: 1-line block ×3, first 2 shown]
	v_fmac_f64_e32 v[10:11], -0.5, v[40:41]
	v_add_f64 v[40:41], v[202:203], -v[206:207]
	v_accvgpr_write_b32 a215, v53
	v_fma_f64 v[58:59], s[4:5], v[40:41], v[10:11]
	v_fmac_f64_e32 v[10:11], s[2:3], v[40:41]
	v_add_f64 v[40:41], v[4:5], v[210:211]
	v_accvgpr_write_b32 a214, v52
	v_accvgpr_write_b32 a213, v51
	;; [unrolled: 1-line block ×3, first 2 shown]
	v_add_f64 v[52:53], v[40:41], v[214:215]
	v_add_f64 v[40:41], v[210:211], v[214:215]
	v_fmac_f64_e32 v[4:5], -0.5, v[40:41]
	v_add_f64 v[40:41], v[212:213], -v[216:217]
	v_fma_f64 v[48:49], s[2:3], v[40:41], v[4:5]
	v_fmac_f64_e32 v[4:5], s[4:5], v[40:41]
	v_add_f64 v[40:41], v[6:7], v[212:213]
	v_fmac_f64_e32 v[220:221], v[46:47], v[54:55]
	v_add_f64 v[54:55], v[40:41], v[216:217]
	v_add_f64 v[40:41], v[212:213], v[216:217]
	v_fmac_f64_e32 v[6:7], -0.5, v[40:41]
	v_add_f64 v[40:41], v[210:211], -v[214:215]
	v_fmac_f64_e32 v[224:225], v[42:43], v[50:51]
	v_fma_f64 v[50:51], s[4:5], v[40:41], v[6:7]
	v_fmac_f64_e32 v[6:7], s[2:3], v[40:41]
	v_add_f64 v[40:41], v[0:1], v[218:219]
	v_add_f64 v[44:45], v[40:41], v[222:223]
	;; [unrolled: 1-line block ×3, first 2 shown]
	v_fmac_f64_e32 v[0:1], -0.5, v[40:41]
	v_add_f64 v[42:43], v[220:221], -v[224:225]
	v_fma_f64 v[40:41], s[2:3], v[42:43], v[0:1]
	v_fmac_f64_e32 v[0:1], s[4:5], v[42:43]
	v_add_f64 v[42:43], v[2:3], v[220:221]
	v_add_f64 v[46:47], v[42:43], v[224:225]
	;; [unrolled: 1-line block ×3, first 2 shown]
	v_fmac_f64_e32 v[2:3], -0.5, v[42:43]
	v_add_f64 v[120:121], v[218:219], -v[222:223]
	v_fma_f64 v[42:43], s[4:5], v[120:121], v[2:3]
	v_fmac_f64_e32 v[2:3], s[2:3], v[120:121]
	v_mul_u32_u24_e32 v120, 9, v149
	v_add_lshl_u32 v120, v120, v163, 4
	scratch_store_dword off, v120, off offset:40 ; 4-byte Folded Spill
	ds_write_b128 v120, v[116:119]
	ds_write_b128 v120, v[108:111] offset:48
	ds_write_b128 v120, v[36:39] offset:96
	v_mul_u32_u24_e32 v36, 9, v135
	v_add_lshl_u32 v36, v36, v139, 4
	ds_write_b128 v36, v[112:115]
	scratch_store_dword off, v36, off offset:44 ; 4-byte Folded Spill
	ds_write_b128 v36, v[104:107] offset:48
	ds_write_b128 v36, v[32:35] offset:96
	v_mad_legacy_u16 v32, v137, 9, v143
	v_lshlrev_b32_e32 v32, 4, v32
	ds_write_b128 v32, v[100:103]
	scratch_store_dword off, v32, off offset:48 ; 4-byte Folded Spill
	ds_write_b128 v32, v[96:99] offset:48
	ds_write_b128 v32, v[28:31] offset:96
	v_mad_legacy_u16 v28, v145, 9, v147
	v_lshlrev_b32_e32 v28, 4, v28
	;; [unrolled: 6-line block ×5, first 2 shown]
	v_mov_b32_e32 v139, 57
	ds_write_b128 v16, v[68:71]
	scratch_store_dword off, v16, off offset:64 ; 4-byte Folded Spill
	ds_write_b128 v16, v[64:67] offset:48
	ds_write_b128 v16, v[12:15] offset:96
	v_mad_legacy_u16 v12, v193, 9, v194
	v_mul_lo_u16_sdwa v120, v162, v139 dst_sel:DWORD dst_unused:UNUSED_PAD src0_sel:BYTE_0 src1_sel:DWORD
	v_lshlrev_b32_e32 v12, 4, v12
	v_lshrrev_b16_e32 v135, 9, v120
	ds_write_b128 v12, v[60:63]
	scratch_store_dword off, v12, off offset:68 ; 4-byte Folded Spill
	ds_write_b128 v12, v[56:59] offset:48
	ds_write_b128 v12, v[8:11] offset:96
	v_mad_legacy_u16 v8, v148, 9, v192
	v_mul_lo_u16_e32 v120, 9, v135
	v_lshlrev_b32_e32 v8, 4, v8
	v_sub_u16_e32 v120, v162, v120
	ds_write_b128 v8, v[52:55]
	scratch_store_dword off, v8, off offset:72 ; 4-byte Folded Spill
	ds_write_b128 v8, v[48:51] offset:48
	ds_write_b128 v8, v[4:7] offset:96
	v_mad_legacy_u16 v4, v146, 9, v144
	v_and_b32_e32 v137, 0xff, v120
	v_mov_b64_e32 v[120:121], s[6:7]
	v_lshlrev_b32_e32 v4, 4, v4
	v_mad_u64_u32 v[122:123], s[10:11], v137, s8, v[120:121]
	ds_write_b128 v4, v[44:47]
	scratch_store_dword off, v4, off offset:76 ; 4-byte Folded Spill
	ds_write_b128 v4, v[40:43] offset:48
	ds_write_b128 v4, v[0:3] offset:96
	s_waitcnt lgkmcnt(0)
	s_barrier
	ds_read_b128 v[40:43], v252
	ds_read_b128 v[116:119], v252 offset:5184
	ds_read_b128 v[112:115], v252 offset:10368
	;; [unrolled: 1-line block ×29, first 2 shown]
	global_load_dwordx4 v[146:149], v[122:123], off offset:144
	global_load_dwordx4 v[150:153], v[122:123], off offset:128
	;; [unrolled: 1-line block ×4, first 2 shown]
	s_mov_b32 s10, 0x134454ff
	s_mov_b32 s11, 0x3fee6f0e
	;; [unrolled: 1-line block ×3, first 2 shown]
	s_waitcnt vmcnt(3)
	v_accvgpr_write_b32 a239, v149
	v_accvgpr_write_b32 a238, v148
	;; [unrolled: 1-line block ×3, first 2 shown]
	s_waitcnt vmcnt(0) lgkmcnt(14)
	v_mul_f64 v[124:125], v[118:119], v[130:131]
	v_mov_b64_e32 v[160:161], v[130:131]
	v_fma_f64 v[126:127], v[116:117], v[128:129], -v[124:125]
	v_mov_b64_e32 v[158:159], v[128:129]
	v_mul_f64 v[128:129], v[116:117], v[160:161]
	v_accvgpr_write_b32 a227, v161
	v_mul_f64 v[116:117], v[114:115], v[156:157]
	v_fmac_f64_e32 v[128:129], v[118:119], v[158:159]
	v_accvgpr_write_b32 a226, v160
	v_accvgpr_write_b32 a225, v159
	;; [unrolled: 1-line block ×3, first 2 shown]
	v_fma_f64 v[140:141], v[112:113], v[154:155], -v[116:117]
	v_mul_f64 v[158:159], v[112:113], v[156:157]
	v_mul_f64 v[112:113], v[110:111], v[152:153]
	v_fma_f64 v[144:145], v[108:109], v[150:151], -v[112:113]
	v_mul_f64 v[130:131], v[108:109], v[152:153]
	v_mul_f64 v[108:109], v[106:107], v[148:149]
	;; [unrolled: 1-line block ×3, first 2 shown]
	v_fmac_f64_e32 v[158:159], v[114:115], v[154:155]
	v_fmac_f64_e32 v[130:131], v[110:111], v[150:151]
	v_fma_f64 v[164:165], v[104:105], v[146:147], -v[108:109]
	v_fmac_f64_e32 v[160:161], v[106:107], v[146:147]
	v_accvgpr_write_b32 a236, v146
	global_load_dwordx4 v[106:109], v[122:123], off offset:208
	global_load_dwordx4 v[110:113], v[122:123], off offset:192
	;; [unrolled: 1-line block ×5, first 2 shown]
	v_accvgpr_write_b32 a235, v153
	v_accvgpr_write_b32 a234, v152
	;; [unrolled: 1-line block ×8, first 2 shown]
	s_waitcnt vmcnt(4)
	v_mul_f64 v[168:169], v[88:89], v[108:109]
	v_fmac_f64_e32 v[168:169], v[90:91], v[106:107]
	s_waitcnt vmcnt(2)
	v_mul_f64 v[166:167], v[96:97], v[116:117]
	s_waitcnt vmcnt(1)
	v_mul_f64 v[104:105], v[102:103], v[148:149]
	v_mov_b64_e32 v[150:151], v[148:149]
	v_fma_f64 v[152:153], v[100:101], v[146:147], -v[104:105]
	v_mov_b64_e32 v[148:149], v[146:147]
	v_mul_f64 v[146:147], v[100:101], v[150:151]
	v_mul_f64 v[100:101], v[98:99], v[116:117]
	v_accvgpr_write_b32 a243, v151
	v_fma_f64 v[170:171], v[96:97], v[114:115], -v[100:101]
	v_mul_f64 v[96:97], v[94:95], v[112:113]
	v_fmac_f64_e32 v[146:147], v[102:103], v[148:149]
	v_accvgpr_write_b32 a242, v150
	v_accvgpr_write_b32 a241, v149
	;; [unrolled: 1-line block ×3, first 2 shown]
	v_fma_f64 v[154:155], v[92:93], v[110:111], -v[96:97]
	v_mul_f64 v[148:149], v[92:93], v[112:113]
	v_mul_f64 v[92:93], v[90:91], v[108:109]
	v_fma_f64 v[172:173], v[88:89], v[106:107], -v[92:93]
	s_waitcnt vmcnt(0)
	v_mul_f64 v[88:89], v[86:87], v[230:231]
	v_fma_f64 v[156:157], v[84:85], v[228:229], -v[88:89]
	v_mul_f64 v[150:151], v[84:85], v[230:231]
	v_mul_lo_u16_sdwa v84, v136, v139 dst_sel:DWORD dst_unused:UNUSED_PAD src0_sel:BYTE_0 src1_sel:DWORD
	v_lshrrev_b16_e32 v139, 9, v84
	v_mul_lo_u16_e32 v84, 9, v139
	v_sub_u16_e32 v84, v136, v84
	v_and_b32_e32 v143, 0xff, v84
	v_mad_u64_u32 v[84:85], s[8:9], v143, s8, v[120:121]
	global_load_dwordx4 v[88:91], v[84:85], off offset:144
	global_load_dwordx4 v[240:243], v[84:85], off offset:128
	;; [unrolled: 1-line block ×4, first 2 shown]
	v_fmac_f64_e32 v[150:151], v[86:87], v[228:229]
	s_mov_b32 s8, 0xe38f
	v_fmac_f64_e32 v[166:167], v[98:99], v[114:115]
	v_accvgpr_write_b32 a165, v113
	v_accvgpr_write_b32 a164, v112
	;; [unrolled: 1-line block ×12, first 2 shown]
	v_fmac_f64_e32 v[148:149], v[94:95], v[110:111]
	s_waitcnt vmcnt(3)
	v_accvgpr_write_b32 a157, v91
	v_accvgpr_write_b32 a156, v90
	;; [unrolled: 1-line block ×3, first 2 shown]
	s_waitcnt vmcnt(0)
	v_mul_f64 v[86:87], v[82:83], v[210:211]
	v_fma_f64 v[122:123], v[80:81], v[208:209], -v[86:87]
	v_mul_f64 v[80:81], v[80:81], v[210:211]
	v_fmac_f64_e32 v[80:81], v[82:83], v[208:209]
	v_mul_f64 v[82:83], v[78:79], v[218:219]
	v_fma_f64 v[124:125], v[76:77], v[216:217], -v[82:83]
	v_mul_f64 v[82:83], v[76:77], v[218:219]
	v_mul_f64 v[76:77], v[74:75], v[242:243]
	v_fma_f64 v[76:77], v[72:73], v[240:241], -v[76:77]
	v_mul_f64 v[72:73], v[72:73], v[242:243]
	v_fmac_f64_e32 v[72:73], v[74:75], v[240:241]
	v_mul_f64 v[74:75], v[70:71], v[90:91]
	v_fmac_f64_e32 v[82:83], v[78:79], v[216:217]
	v_fma_f64 v[78:79], v[68:69], v[88:89], -v[74:75]
	v_mul_f64 v[74:75], v[68:69], v[90:91]
	v_fmac_f64_e32 v[74:75], v[70:71], v[88:89]
	v_accvgpr_write_b32 a154, v88
	global_load_dwordx4 v[86:89], v[84:85], off offset:208
	global_load_dwordx4 v[90:93], v[84:85], off offset:192
	;; [unrolled: 1-line block ×4, first 2 shown]
	s_waitcnt vmcnt(3)
	v_accvgpr_write_b32 a193, v89
	v_accvgpr_write_b32 a192, v88
	v_accvgpr_write_b32 a191, v87
	s_waitcnt vmcnt(0)
	v_mul_f64 v[68:69], v[66:67], v[214:215]
	v_fma_f64 v[68:69], v[64:65], v[212:213], -v[68:69]
	v_mul_f64 v[64:65], v[64:65], v[214:215]
	v_fmac_f64_e32 v[64:65], v[66:67], v[212:213]
	s_waitcnt lgkmcnt(13)
	v_mul_f64 v[66:67], v[62:63], v[238:239]
	v_fma_f64 v[70:71], v[60:61], v[236:237], -v[66:67]
	v_mul_f64 v[66:67], v[60:61], v[238:239]
	s_waitcnt lgkmcnt(12)
	v_mul_f64 v[60:61], v[58:59], v[92:93]
	v_fma_f64 v[60:61], v[56:57], v[90:91], -v[60:61]
	v_mul_f64 v[56:57], v[56:57], v[92:93]
	v_fmac_f64_e32 v[56:57], v[58:59], v[90:91]
	s_waitcnt lgkmcnt(11)
	v_mul_f64 v[58:59], v[54:55], v[88:89]
	v_fmac_f64_e32 v[66:67], v[62:63], v[236:237]
	v_fma_f64 v[62:63], v[52:53], v[86:87], -v[58:59]
	v_mul_f64 v[58:59], v[52:53], v[88:89]
	v_fmac_f64_e32 v[58:59], v[54:55], v[86:87]
	v_accvgpr_write_b32 a190, v86
	global_load_dwordx4 v[84:87], v[84:85], off offset:224
	v_accvgpr_write_b32 a169, v93
	v_accvgpr_write_b32 a168, v92
	v_accvgpr_write_b32 a167, v91
	v_accvgpr_write_b32 a166, v90
	s_waitcnt vmcnt(0) lgkmcnt(10)
	v_mul_f64 v[52:53], v[50:51], v[86:87]
	v_fma_f64 v[52:53], v[48:49], v[84:85], -v[52:53]
	v_mul_f64 v[48:49], v[48:49], v[86:87]
	v_fmac_f64_e32 v[48:49], v[50:51], v[84:85]
	v_mul_u32_u24_sdwa v50, v134, s8 dst_sel:DWORD dst_unused:UNUSED_PAD src0_sel:WORD_0 src1_sel:DWORD
	v_lshrrev_b32_e32 v174, 19, v50
	v_mul_lo_u16_e32 v50, 9, v174
	v_sub_u16_e32 v175, v134, v50
	v_mul_lo_u16_e32 v50, 0x90, v175
	v_mov_b32_e32 v51, v253
	v_accvgpr_write_b32 a255, v87
	v_lshl_add_u64 v[50:51], s[6:7], 0, v[50:51]
	v_accvgpr_write_b32 a254, v86
	v_accvgpr_write_b32 a253, v85
	;; [unrolled: 1-line block ×3, first 2 shown]
	global_load_dwordx4 v[86:89], v[50:51], off offset:144
	global_load_dwordx4 v[90:93], v[50:51], off offset:128
	;; [unrolled: 1-line block ×4, first 2 shown]
	s_mov_b32 s8, 0x4755a5e
	s_mov_b32 s9, 0x3fe2cf23
	;; [unrolled: 1-line block ×3, first 2 shown]
	s_waitcnt vmcnt(3) lgkmcnt(5)
	v_mul_f64 v[106:107], v[28:29], v[88:89]
	v_fmac_f64_e32 v[106:107], v[30:31], v[86:87]
	s_waitcnt vmcnt(1)
	v_mul_f64 v[104:105], v[36:37], v[246:247]
	s_waitcnt vmcnt(0)
	v_mul_f64 v[54:55], v[46:47], v[226:227]
	v_fma_f64 v[98:99], v[44:45], v[224:225], -v[54:55]
	v_mul_f64 v[102:103], v[44:45], v[226:227]
	v_mul_f64 v[44:45], v[38:39], v[246:247]
	v_fmac_f64_e32 v[102:103], v[46:47], v[224:225]
	v_fma_f64 v[112:113], v[36:37], v[244:245], -v[44:45]
	v_mov_b64_e32 v[44:45], v[90:91]
	v_mov_b64_e32 v[46:47], v[92:93]
	v_mul_f64 v[36:37], v[34:35], v[46:47]
	v_fma_f64 v[92:93], v[32:33], v[44:45], -v[36:37]
	v_mul_f64 v[84:85], v[32:33], v[46:47]
	v_accvgpr_write_b32 a177, v47
	v_mul_f64 v[32:33], v[30:31], v[88:89]
	v_fmac_f64_e32 v[84:85], v[34:35], v[44:45]
	v_accvgpr_write_b32 a176, v46
	v_accvgpr_write_b32 a175, v45
	v_accvgpr_write_b32 a174, v44
	v_fma_f64 v[114:115], v[28:29], v[86:87], -v[32:33]
	global_load_dwordx4 v[30:33], v[50:51], off offset:208
	global_load_dwordx4 v[34:37], v[50:51], off offset:192
	;; [unrolled: 1-line block ×4, first 2 shown]
	v_accvgpr_write_b32 a181, v89
	v_accvgpr_write_b32 a180, v88
	;; [unrolled: 1-line block ×4, first 2 shown]
	v_fmac_f64_e32 v[104:105], v[38:39], v[244:245]
	s_waitcnt vmcnt(3) lgkmcnt(1)
	v_mul_f64 v[110:111], v[12:13], v[32:33]
	s_waitcnt vmcnt(2)
	v_mul_f64 v[88:89], v[16:17], v[36:37]
	s_waitcnt vmcnt(1)
	;; [unrolled: 2-line block ×3, first 2 shown]
	v_mul_f64 v[28:29], v[26:27], v[234:235]
	v_fma_f64 v[94:95], v[24:25], v[232:233], -v[28:29]
	v_mul_f64 v[86:87], v[24:25], v[234:235]
	v_mul_f64 v[24:25], v[22:23], v[46:47]
	v_fma_f64 v[116:117], v[20:21], v[44:45], -v[24:25]
	v_mul_f64 v[20:21], v[18:19], v[36:37]
	v_fma_f64 v[96:97], v[16:17], v[34:35], -v[20:21]
	;; [unrolled: 2-line block ×3, first 2 shown]
	v_fmac_f64_e32 v[110:111], v[14:15], v[30:31]
	global_load_dwordx4 v[14:17], v[50:51], off offset:224
	v_accvgpr_write_b32 a251, v33
	v_accvgpr_write_b32 a250, v32
	;; [unrolled: 1-line block ×5, first 2 shown]
	v_fmac_f64_e32 v[88:89], v[18:19], v[34:35]
	v_accvgpr_write_b32 a188, v36
	v_accvgpr_write_b32 a187, v35
	;; [unrolled: 1-line block ×7, first 2 shown]
	v_fmac_f64_e32 v[108:109], v[22:23], v[44:45]
	v_fmac_f64_e32 v[86:87], v[26:27], v[232:233]
	v_add_f64 v[18:19], v[150:151], -v[148:149]
	s_waitcnt lgkmcnt(0)
	s_barrier
	s_waitcnt vmcnt(0)
	v_mul_f64 v[12:13], v[10:11], v[16:17]
	v_fma_f64 v[100:101], v[8:9], v[14:15], -v[12:13]
	v_mul_f64 v[90:91], v[8:9], v[16:17]
	v_add_f64 v[8:9], v[40:41], v[140:141]
	v_add_f64 v[8:9], v[8:9], v[164:165]
	;; [unrolled: 1-line block ×5, first 2 shown]
	v_accvgpr_write_b32 a247, v17
	v_fma_f64 v[30:31], -0.5, v[8:9], v[40:41]
	v_add_f64 v[8:9], v[158:159], -v[168:169]
	v_fmac_f64_e32 v[90:91], v[10:11], v[14:15]
	v_accvgpr_write_b32 a246, v16
	v_accvgpr_write_b32 a245, v15
	;; [unrolled: 1-line block ×3, first 2 shown]
	v_fma_f64 v[32:33], s[10:11], v[8:9], v[30:31]
	v_add_f64 v[10:11], v[160:161], -v[166:167]
	v_add_f64 v[12:13], v[140:141], -v[164:165]
	v_add_f64 v[14:15], v[172:173], -v[170:171]
	v_fmac_f64_e32 v[30:31], s[16:17], v[8:9]
	v_fmac_f64_e32 v[32:33], s[8:9], v[10:11]
	v_add_f64 v[12:13], v[12:13], v[14:15]
	v_fmac_f64_e32 v[30:31], s[14:15], v[10:11]
	v_fmac_f64_e32 v[32:33], s[12:13], v[12:13]
	v_fmac_f64_e32 v[30:31], s[12:13], v[12:13]
	v_add_f64 v[12:13], v[140:141], v[172:173]
	v_fmac_f64_e32 v[40:41], -0.5, v[12:13]
	v_fma_f64 v[38:39], s[16:17], v[10:11], v[40:41]
	v_fmac_f64_e32 v[40:41], s[10:11], v[10:11]
	v_fmac_f64_e32 v[38:39], s[8:9], v[8:9]
	v_fmac_f64_e32 v[40:41], s[14:15], v[8:9]
	v_add_f64 v[8:9], v[42:43], v[158:159]
	v_add_f64 v[8:9], v[8:9], v[160:161]
	v_add_f64 v[8:9], v[8:9], v[166:167]
	v_add_f64 v[12:13], v[164:165], -v[140:141]
	v_add_f64 v[14:15], v[170:171], -v[172:173]
	v_add_f64 v[34:35], v[8:9], v[168:169]
	v_add_f64 v[8:9], v[160:161], v[166:167]
	v_add_f64 v[12:13], v[12:13], v[14:15]
	v_fma_f64 v[50:51], -0.5, v[8:9], v[42:43]
	v_add_f64 v[8:9], v[140:141], -v[172:173]
	v_fmac_f64_e32 v[38:39], s[12:13], v[12:13]
	v_fmac_f64_e32 v[40:41], s[12:13], v[12:13]
	v_fma_f64 v[46:47], s[16:17], v[8:9], v[50:51]
	v_add_f64 v[10:11], v[164:165], -v[170:171]
	v_add_f64 v[12:13], v[158:159], -v[160:161]
	v_add_f64 v[14:15], v[168:169], -v[166:167]
	v_fmac_f64_e32 v[50:51], s[10:11], v[8:9]
	v_fmac_f64_e32 v[46:47], s[14:15], v[10:11]
	v_add_f64 v[12:13], v[12:13], v[14:15]
	v_fmac_f64_e32 v[50:51], s[8:9], v[10:11]
	v_fmac_f64_e32 v[46:47], s[12:13], v[12:13]
	v_fmac_f64_e32 v[50:51], s[12:13], v[12:13]
	v_add_f64 v[12:13], v[158:159], v[168:169]
	v_fmac_f64_e32 v[42:43], -0.5, v[12:13]
	v_fma_f64 v[54:55], s[10:11], v[10:11], v[42:43]
	v_fmac_f64_e32 v[42:43], s[16:17], v[10:11]
	v_fmac_f64_e32 v[54:55], s[14:15], v[8:9]
	v_fmac_f64_e32 v[42:43], s[8:9], v[8:9]
	v_add_f64 v[8:9], v[126:127], v[144:145]
	v_add_f64 v[8:9], v[8:9], v[152:153]
	v_add_f64 v[8:9], v[8:9], v[154:155]
	v_add_f64 v[12:13], v[160:161], -v[158:159]
	v_add_f64 v[14:15], v[166:167], -v[168:169]
	v_add_f64 v[36:37], v[8:9], v[156:157]
	v_add_f64 v[8:9], v[152:153], v[154:155]
	v_add_f64 v[12:13], v[12:13], v[14:15]
	v_fma_f64 v[22:23], -0.5, v[8:9], v[126:127]
	v_add_f64 v[8:9], v[130:131], -v[150:151]
	v_fmac_f64_e32 v[54:55], s[12:13], v[12:13]
	v_fmac_f64_e32 v[42:43], s[12:13], v[12:13]
	;; [unrolled: 28-line block ×3, first 2 shown]
	v_fma_f64 v[14:15], s[16:17], v[8:9], v[44:45]
	v_add_f64 v[12:13], v[152:153], -v[154:155]
	v_add_f64 v[16:17], v[130:131], -v[146:147]
	v_fmac_f64_e32 v[44:45], s[10:11], v[8:9]
	v_fmac_f64_e32 v[14:15], s[14:15], v[12:13]
	v_add_f64 v[16:17], v[16:17], v[18:19]
	v_fmac_f64_e32 v[44:45], s[8:9], v[12:13]
	v_fmac_f64_e32 v[14:15], s[12:13], v[16:17]
	;; [unrolled: 1-line block ×3, first 2 shown]
	v_add_f64 v[16:17], v[130:131], v[150:151]
	v_fmac_f64_e32 v[128:129], -0.5, v[16:17]
	v_fma_f64 v[144:145], s[10:11], v[12:13], v[128:129]
	v_add_f64 v[16:17], v[146:147], -v[130:131]
	v_add_f64 v[18:19], v[148:149], -v[150:151]
	v_fmac_f64_e32 v[128:129], s[16:17], v[12:13]
	v_add_f64 v[16:17], v[16:17], v[18:19]
	v_fmac_f64_e32 v[128:129], s[8:9], v[8:9]
	v_fmac_f64_e32 v[144:145], s[14:15], v[8:9]
	;; [unrolled: 1-line block ×3, first 2 shown]
	v_mul_f64 v[148:149], v[126:127], s[20:21]
	v_fmac_f64_e32 v[144:145], s[12:13], v[16:17]
	v_fmac_f64_e32 v[148:149], s[10:11], v[128:129]
	v_mul_f64 v[128:129], v[128:129], s[20:21]
	v_mul_f64 v[146:147], v[144:145], s[10:11]
	;; [unrolled: 1-line block ×3, first 2 shown]
	v_fmac_f64_e32 v[128:129], s[16:17], v[126:127]
	v_mul_f64 v[126:127], v[44:45], s[18:19]
	v_fmac_f64_e32 v[146:147], s[12:13], v[26:27]
	v_fmac_f64_e32 v[152:153], s[22:23], v[14:15]
	v_fmac_f64_e32 v[126:127], s[14:15], v[22:23]
	v_add_f64 v[16:17], v[28:29], v[36:37]
	v_mul_f64 v[130:131], v[14:15], s[8:9]
	v_add_f64 v[8:9], v[38:39], v[146:147]
	v_mul_f64 v[150:151], v[22:23], s[18:19]
	v_add_f64 v[18:19], v[34:35], v[140:141]
	v_add_f64 v[14:15], v[46:47], v[152:153]
	v_mul_f64 v[154:155], v[26:27], s[16:17]
	v_add_f64 v[26:27], v[42:43], v[128:129]
	v_add_f64 v[22:23], v[50:51], v[126:127]
	v_add_f64 v[36:37], v[28:29], -v[36:37]
	v_add_f64 v[28:29], v[38:39], -v[146:147]
	;; [unrolled: 1-line block ×6, first 2 shown]
	v_add_f64 v[50:51], v[4:5], v[124:125]
	v_add_f64 v[50:51], v[50:51], v[78:79]
	;; [unrolled: 1-line block ×5, first 2 shown]
	v_fmac_f64_e32 v[130:131], s[22:23], v[10:11]
	v_fmac_f64_e32 v[150:151], s[8:9], v[44:45]
	;; [unrolled: 1-line block ×3, first 2 shown]
	v_fma_f64 v[128:129], -0.5, v[50:51], v[4:5]
	v_add_f64 v[50:51], v[82:83], -v[58:59]
	v_add_f64 v[12:13], v[32:33], v[130:131]
	v_add_f64 v[24:25], v[40:41], v[148:149]
	;; [unrolled: 1-line block ×4, first 2 shown]
	v_add_f64 v[32:33], v[32:33], -v[130:131]
	v_add_f64 v[44:45], v[40:41], -v[148:149]
	;; [unrolled: 1-line block ×4, first 2 shown]
	v_fma_f64 v[130:131], s[10:11], v[50:51], v[128:129]
	v_add_f64 v[54:55], v[74:75], -v[66:67]
	v_add_f64 v[140:141], v[124:125], -v[78:79]
	;; [unrolled: 1-line block ×3, first 2 shown]
	v_fmac_f64_e32 v[128:129], s[16:17], v[50:51]
	v_fmac_f64_e32 v[130:131], s[8:9], v[54:55]
	v_add_f64 v[140:141], v[140:141], v[144:145]
	v_fmac_f64_e32 v[128:129], s[14:15], v[54:55]
	v_fmac_f64_e32 v[130:131], s[12:13], v[140:141]
	;; [unrolled: 1-line block ×3, first 2 shown]
	v_add_f64 v[140:141], v[124:125], v[62:63]
	v_fmac_f64_e32 v[4:5], -0.5, v[140:141]
	v_fma_f64 v[146:147], s[16:17], v[54:55], v[4:5]
	v_fmac_f64_e32 v[4:5], s[10:11], v[54:55]
	v_fmac_f64_e32 v[146:147], s[8:9], v[50:51]
	;; [unrolled: 1-line block ×3, first 2 shown]
	v_add_f64 v[50:51], v[6:7], v[82:83]
	v_add_f64 v[140:141], v[78:79], -v[124:125]
	v_add_f64 v[144:145], v[70:71], -v[62:63]
	v_add_f64 v[50:51], v[50:51], v[74:75]
	v_add_f64 v[140:141], v[140:141], v[144:145]
	;; [unrolled: 1-line block ×3, first 2 shown]
	v_fmac_f64_e32 v[146:147], s[12:13], v[140:141]
	v_fmac_f64_e32 v[4:5], s[12:13], v[140:141]
	v_add_f64 v[140:141], v[50:51], v[58:59]
	v_add_f64 v[50:51], v[74:75], v[66:67]
	v_fma_f64 v[144:145], -0.5, v[50:51], v[6:7]
	v_add_f64 v[50:51], v[124:125], -v[62:63]
	v_fma_f64 v[124:125], s[16:17], v[50:51], v[144:145]
	v_add_f64 v[54:55], v[78:79], -v[70:71]
	v_add_f64 v[62:63], v[82:83], -v[74:75]
	;; [unrolled: 1-line block ×3, first 2 shown]
	v_fmac_f64_e32 v[144:145], s[10:11], v[50:51]
	v_fmac_f64_e32 v[124:125], s[14:15], v[54:55]
	v_add_f64 v[62:63], v[62:63], v[70:71]
	v_fmac_f64_e32 v[144:145], s[8:9], v[54:55]
	v_fmac_f64_e32 v[124:125], s[12:13], v[62:63]
	;; [unrolled: 1-line block ×3, first 2 shown]
	v_add_f64 v[62:63], v[82:83], v[58:59]
	v_fmac_f64_e32 v[6:7], -0.5, v[62:63]
	v_fma_f64 v[70:71], s[10:11], v[54:55], v[6:7]
	v_fmac_f64_e32 v[6:7], s[16:17], v[54:55]
	v_fmac_f64_e32 v[70:71], s[14:15], v[50:51]
	v_fmac_f64_e32 v[6:7], s[8:9], v[50:51]
	v_add_f64 v[50:51], v[122:123], v[76:77]
	v_add_f64 v[50:51], v[50:51], v[68:69]
	;; [unrolled: 1-line block ×3, first 2 shown]
	v_add_f64 v[62:63], v[74:75], -v[82:83]
	v_add_f64 v[58:59], v[66:67], -v[58:59]
	v_add_f64 v[74:75], v[50:51], v[52:53]
	v_add_f64 v[50:51], v[68:69], v[60:61]
	;; [unrolled: 1-line block ×3, first 2 shown]
	v_fma_f64 v[62:63], -0.5, v[50:51], v[122:123]
	v_add_f64 v[50:51], v[72:73], -v[48:49]
	v_fmac_f64_e32 v[70:71], s[12:13], v[58:59]
	v_fmac_f64_e32 v[6:7], s[12:13], v[58:59]
	v_fma_f64 v[54:55], s[10:11], v[50:51], v[62:63]
	v_add_f64 v[58:59], v[64:65], -v[56:57]
	v_add_f64 v[66:67], v[76:77], -v[68:69]
	;; [unrolled: 1-line block ×3, first 2 shown]
	v_fmac_f64_e32 v[62:63], s[16:17], v[50:51]
	v_fmac_f64_e32 v[54:55], s[8:9], v[58:59]
	v_add_f64 v[66:67], v[66:67], v[78:79]
	v_fmac_f64_e32 v[62:63], s[14:15], v[58:59]
	v_fmac_f64_e32 v[54:55], s[12:13], v[66:67]
	;; [unrolled: 1-line block ×3, first 2 shown]
	v_add_f64 v[66:67], v[76:77], v[52:53]
	v_fmac_f64_e32 v[122:123], -0.5, v[66:67]
	v_fma_f64 v[66:67], s[16:17], v[58:59], v[122:123]
	v_fmac_f64_e32 v[122:123], s[10:11], v[58:59]
	v_fmac_f64_e32 v[66:67], s[8:9], v[50:51]
	;; [unrolled: 1-line block ×3, first 2 shown]
	v_add_f64 v[50:51], v[80:81], v[72:73]
	v_add_f64 v[78:79], v[68:69], -v[76:77]
	v_add_f64 v[82:83], v[60:61], -v[52:53]
	v_add_f64 v[50:51], v[50:51], v[64:65]
	v_add_f64 v[78:79], v[78:79], v[82:83]
	;; [unrolled: 1-line block ×3, first 2 shown]
	v_fmac_f64_e32 v[66:67], s[12:13], v[78:79]
	v_fmac_f64_e32 v[122:123], s[12:13], v[78:79]
	v_add_f64 v[78:79], v[50:51], v[48:49]
	v_add_f64 v[50:51], v[64:65], v[56:57]
	v_fma_f64 v[82:83], -0.5, v[50:51], v[80:81]
	v_add_f64 v[50:51], v[76:77], -v[52:53]
	v_fma_f64 v[76:77], s[16:17], v[50:51], v[82:83]
	v_add_f64 v[52:53], v[68:69], -v[60:61]
	v_add_f64 v[58:59], v[72:73], -v[64:65]
	;; [unrolled: 1-line block ×3, first 2 shown]
	v_fmac_f64_e32 v[82:83], s[10:11], v[50:51]
	v_fmac_f64_e32 v[76:77], s[14:15], v[52:53]
	v_add_f64 v[58:59], v[58:59], v[60:61]
	v_fmac_f64_e32 v[82:83], s[8:9], v[52:53]
	v_fmac_f64_e32 v[76:77], s[12:13], v[58:59]
	;; [unrolled: 1-line block ×3, first 2 shown]
	v_add_f64 v[58:59], v[72:73], v[48:49]
	v_fmac_f64_e32 v[80:81], -0.5, v[58:59]
	v_fma_f64 v[68:69], s[10:11], v[52:53], v[80:81]
	v_add_f64 v[58:59], v[64:65], -v[72:73]
	v_add_f64 v[48:49], v[56:57], -v[48:49]
	v_fmac_f64_e32 v[80:81], s[16:17], v[52:53]
	v_add_f64 v[48:49], v[58:59], v[48:49]
	v_fmac_f64_e32 v[80:81], s[8:9], v[50:51]
	v_fmac_f64_e32 v[80:81], s[12:13], v[48:49]
	;; [unrolled: 1-line block ×3, first 2 shown]
	v_mul_f64 v[158:159], v[80:81], s[20:21]
	v_fmac_f64_e32 v[68:69], s[12:13], v[48:49]
	v_mul_f64 v[150:151], v[122:123], s[20:21]
	v_fmac_f64_e32 v[158:159], s[16:17], v[122:123]
	v_mul_f64 v[122:123], v[82:83], s[18:19]
	v_mul_f64 v[148:149], v[68:69], s[10:11]
	;; [unrolled: 1-line block ×3, first 2 shown]
	v_fmac_f64_e32 v[122:123], s[14:15], v[62:63]
	v_fmac_f64_e32 v[148:149], s[12:13], v[66:67]
	;; [unrolled: 1-line block ×3, first 2 shown]
	v_mul_f64 v[156:157], v[66:67], s[16:17]
	v_add_f64 v[66:67], v[6:7], v[158:159]
	v_add_f64 v[62:63], v[144:145], v[122:123]
	v_add_f64 v[82:83], v[6:7], -v[158:159]
	v_add_f64 v[6:7], v[144:145], -v[122:123]
	v_add_f64 v[122:123], v[0:1], v[112:113]
	v_add_f64 v[122:123], v[122:123], v[114:115]
	v_mul_f64 v[154:155], v[54:55], s[14:15]
	v_add_f64 v[122:123], v[122:123], v[116:117]
	v_add_f64 v[56:57], v[126:127], v[74:75]
	v_mul_f64 v[72:73], v[76:77], s[8:9]
	v_fmac_f64_e32 v[150:151], s[10:11], v[80:81]
	v_fmac_f64_e32 v[154:155], s[22:23], v[76:77]
	v_add_f64 v[76:77], v[126:127], -v[74:75]
	v_add_f64 v[126:127], v[122:123], v[118:119]
	v_add_f64 v[122:123], v[114:115], v[116:117]
	v_fmac_f64_e32 v[72:73], s[22:23], v[54:55]
	v_add_f64 v[64:65], v[4:5], v[150:151]
	v_add_f64 v[60:61], v[128:129], v[152:153]
	v_add_f64 v[80:81], v[4:5], -v[150:151]
	v_add_f64 v[4:5], v[128:129], -v[152:153]
	v_fma_f64 v[128:129], -0.5, v[122:123], v[0:1]
	v_add_f64 v[122:123], v[104:105], -v[110:111]
	v_add_f64 v[52:53], v[130:131], v[72:73]
	v_add_f64 v[58:59], v[140:141], v[78:79]
	;; [unrolled: 1-line block ×3, first 2 shown]
	v_add_f64 v[72:73], v[130:131], -v[72:73]
	v_add_f64 v[78:79], v[140:141], -v[78:79]
	;; [unrolled: 1-line block ×3, first 2 shown]
	v_fma_f64 v[130:131], s[10:11], v[122:123], v[128:129]
	v_add_f64 v[124:125], v[106:107], -v[108:109]
	v_add_f64 v[140:141], v[112:113], -v[114:115]
	;; [unrolled: 1-line block ×3, first 2 shown]
	v_fmac_f64_e32 v[128:129], s[16:17], v[122:123]
	v_fmac_f64_e32 v[130:131], s[8:9], v[124:125]
	v_add_f64 v[140:141], v[140:141], v[144:145]
	v_fmac_f64_e32 v[128:129], s[14:15], v[124:125]
	v_fmac_f64_e32 v[130:131], s[12:13], v[140:141]
	;; [unrolled: 1-line block ×3, first 2 shown]
	v_add_f64 v[140:141], v[112:113], v[118:119]
	v_fmac_f64_e32 v[0:1], -0.5, v[140:141]
	v_fma_f64 v[144:145], s[16:17], v[124:125], v[0:1]
	v_fmac_f64_e32 v[0:1], s[10:11], v[124:125]
	v_fmac_f64_e32 v[144:145], s[8:9], v[122:123]
	;; [unrolled: 1-line block ×3, first 2 shown]
	v_add_f64 v[122:123], v[2:3], v[104:105]
	v_add_f64 v[48:49], v[146:147], v[148:149]
	v_fmac_f64_e32 v[156:157], s[12:13], v[68:69]
	v_add_f64 v[68:69], v[146:147], -v[148:149]
	v_add_f64 v[140:141], v[114:115], -v[112:113]
	;; [unrolled: 1-line block ×3, first 2 shown]
	v_add_f64 v[122:123], v[122:123], v[106:107]
	v_add_f64 v[140:141], v[140:141], v[146:147]
	;; [unrolled: 1-line block ×3, first 2 shown]
	v_fmac_f64_e32 v[144:145], s[12:13], v[140:141]
	v_fmac_f64_e32 v[0:1], s[12:13], v[140:141]
	v_add_f64 v[140:141], v[122:123], v[110:111]
	v_add_f64 v[122:123], v[106:107], v[108:109]
	v_fma_f64 v[122:123], -0.5, v[122:123], v[2:3]
	v_add_f64 v[112:113], v[112:113], -v[118:119]
	v_fma_f64 v[118:119], s[16:17], v[112:113], v[122:123]
	v_add_f64 v[114:115], v[114:115], -v[116:117]
	v_add_f64 v[116:117], v[104:105], -v[106:107]
	;; [unrolled: 1-line block ×3, first 2 shown]
	v_fmac_f64_e32 v[122:123], s[10:11], v[112:113]
	v_fmac_f64_e32 v[118:119], s[14:15], v[114:115]
	v_add_f64 v[116:117], v[116:117], v[124:125]
	v_fmac_f64_e32 v[122:123], s[8:9], v[114:115]
	v_fmac_f64_e32 v[118:119], s[12:13], v[116:117]
	;; [unrolled: 1-line block ×3, first 2 shown]
	v_add_f64 v[116:117], v[104:105], v[110:111]
	v_add_f64 v[104:105], v[106:107], -v[104:105]
	v_add_f64 v[106:107], v[108:109], -v[110:111]
	v_fmac_f64_e32 v[2:3], -0.5, v[116:117]
	v_add_f64 v[104:105], v[104:105], v[106:107]
	v_add_f64 v[106:107], v[94:95], v[96:97]
	v_fma_f64 v[146:147], s[10:11], v[114:115], v[2:3]
	v_fmac_f64_e32 v[2:3], s[16:17], v[114:115]
	v_fma_f64 v[106:107], -0.5, v[106:107], v[98:99]
	v_add_f64 v[108:109], v[84:85], -v[90:91]
	v_fmac_f64_e32 v[146:147], s[14:15], v[112:113]
	v_fmac_f64_e32 v[2:3], s[8:9], v[112:113]
	v_fma_f64 v[112:113], s[10:11], v[108:109], v[106:107]
	v_add_f64 v[110:111], v[86:87], -v[88:89]
	v_add_f64 v[114:115], v[92:93], -v[94:95]
	;; [unrolled: 1-line block ×3, first 2 shown]
	v_fmac_f64_e32 v[106:107], s[16:17], v[108:109]
	v_fmac_f64_e32 v[112:113], s[8:9], v[110:111]
	v_add_f64 v[114:115], v[114:115], v[116:117]
	v_fmac_f64_e32 v[106:107], s[14:15], v[110:111]
	v_fmac_f64_e32 v[112:113], s[12:13], v[114:115]
	;; [unrolled: 1-line block ×3, first 2 shown]
	v_add_f64 v[114:115], v[92:93], v[100:101]
	v_fmac_f64_e32 v[146:147], s[12:13], v[104:105]
	v_fmac_f64_e32 v[2:3], s[12:13], v[104:105]
	v_add_f64 v[104:105], v[98:99], v[92:93]
	v_fmac_f64_e32 v[98:99], -0.5, v[114:115]
	v_fma_f64 v[114:115], s[16:17], v[110:111], v[98:99]
	v_fmac_f64_e32 v[98:99], s[10:11], v[110:111]
	v_fmac_f64_e32 v[114:115], s[8:9], v[108:109]
	;; [unrolled: 1-line block ×3, first 2 shown]
	v_add_f64 v[108:109], v[102:103], v[84:85]
	v_add_f64 v[108:109], v[108:109], v[86:87]
	v_add_f64 v[108:109], v[108:109], v[88:89]
	v_add_f64 v[104:105], v[104:105], v[94:95]
	v_add_f64 v[116:117], v[94:95], -v[92:93]
	v_add_f64 v[124:125], v[96:97], -v[100:101]
	v_add_f64 v[110:111], v[108:109], v[90:91]
	v_add_f64 v[108:109], v[86:87], v[88:89]
	;; [unrolled: 1-line block ×4, first 2 shown]
	v_fma_f64 v[108:109], -0.5, v[108:109], v[102:103]
	v_add_f64 v[92:93], v[92:93], -v[100:101]
	v_add_f64 v[104:105], v[104:105], v[100:101]
	v_fmac_f64_e32 v[114:115], s[12:13], v[116:117]
	v_fmac_f64_e32 v[98:99], s[12:13], v[116:117]
	v_fma_f64 v[116:117], s[16:17], v[92:93], v[108:109]
	v_add_f64 v[94:95], v[94:95], -v[96:97]
	v_add_f64 v[96:97], v[84:85], -v[86:87]
	;; [unrolled: 1-line block ×3, first 2 shown]
	v_fmac_f64_e32 v[108:109], s[10:11], v[92:93]
	v_fmac_f64_e32 v[116:117], s[14:15], v[94:95]
	v_add_f64 v[96:97], v[96:97], v[100:101]
	v_fmac_f64_e32 v[108:109], s[8:9], v[94:95]
	v_fmac_f64_e32 v[116:117], s[12:13], v[96:97]
	;; [unrolled: 1-line block ×3, first 2 shown]
	v_add_f64 v[96:97], v[84:85], v[90:91]
	v_fmac_f64_e32 v[102:103], -0.5, v[96:97]
	v_fma_f64 v[124:125], s[10:11], v[94:95], v[102:103]
	v_add_f64 v[84:85], v[86:87], -v[84:85]
	v_add_f64 v[86:87], v[88:89], -v[90:91]
	v_fmac_f64_e32 v[102:103], s[16:17], v[94:95]
	v_fmac_f64_e32 v[124:125], s[14:15], v[92:93]
	v_add_f64 v[84:85], v[84:85], v[86:87]
	v_fmac_f64_e32 v[102:103], s[8:9], v[92:93]
	v_fmac_f64_e32 v[124:125], s[12:13], v[84:85]
	;; [unrolled: 1-line block ×3, first 2 shown]
	v_mul_f64 v[158:159], v[114:115], s[16:17]
	v_add_f64 v[50:51], v[70:71], v[156:157]
	v_add_f64 v[70:71], v[70:71], -v[156:157]
	v_mul_f64 v[150:151], v[124:125], s[10:11]
	v_mul_f64 v[156:157], v[112:113], s[14:15]
	v_fmac_f64_e32 v[158:159], s[12:13], v[124:125]
	v_mul_f64 v[160:161], v[102:103], s[20:21]
	v_mul_f64 v[124:125], v[108:109], s[18:19]
	v_mul_f64 v[152:153], v[98:99], s[20:21]
	v_fmac_f64_e32 v[156:157], s[22:23], v[116:117]
	v_fmac_f64_e32 v[160:161], s[16:17], v[98:99]
	;; [unrolled: 1-line block ×5, first 2 shown]
	v_add_f64 v[94:95], v[140:141], v[110:111]
	v_add_f64 v[90:91], v[118:119], v[156:157]
	;; [unrolled: 1-line block ×4, first 2 shown]
	v_add_f64 v[114:115], v[140:141], -v[110:111]
	v_add_f64 v[110:111], v[118:119], -v[156:157]
	;; [unrolled: 1-line block ×4, first 2 shown]
	v_mul_u32_u24_e32 v122, 0x5a, v135
	v_add_lshl_u32 v177, v122, v137, 4
	ds_write_b128 v177, v[16:19]
	ds_write_b128 v177, v[12:15] offset:144
	ds_write_b128 v177, v[8:11] offset:288
	;; [unrolled: 1-line block ×9, first 2 shown]
	v_mul_u32_u24_e32 v8, 0x5a, v139
	v_add_u32_e32 v122, 0xffffffa6, v162
	v_mul_f64 v[148:149], v[116:117], s[8:9]
	v_mul_f64 v[154:155], v[106:107], s[18:19]
	v_add_lshl_u32 v163, v8, v143, 4
	v_cndmask_b32_e32 v135, v122, v162, vcc
	v_fmac_f64_e32 v[148:149], s[22:23], v[112:113]
	v_fmac_f64_e32 v[154:155], s[8:9], v[108:109]
	ds_write_b128 v163, v[56:59]
	ds_write_b128 v163, v[52:55] offset:144
	ds_write_b128 v163, v[48:51] offset:288
	;; [unrolled: 1-line block ×9, first 2 shown]
	v_mad_legacy_u16 v4, v174, s29, v175
	v_mul_hi_i32_i24_e32 v123, 0x50, v135
	v_mul_i32_i24_e32 v122, 0x50, v135
	v_add_f64 v[92:93], v[126:127], v[104:105]
	v_add_f64 v[88:89], v[130:131], v[148:149]
	;; [unrolled: 1-line block ×6, first 2 shown]
	v_add_f64 v[112:113], v[126:127], -v[104:105]
	v_add_f64 v[108:109], v[130:131], -v[148:149]
	;; [unrolled: 1-line block ×6, first 2 shown]
	v_lshlrev_b32_e32 v176, 4, v4
	v_lshl_add_u64 v[122:123], s[6:7], 0, v[122:123]
	ds_write_b128 v176, v[92:95]
	ds_write_b128 v176, v[88:91] offset:144
	ds_write_b128 v176, v[84:87] offset:288
	;; [unrolled: 1-line block ×9, first 2 shown]
	s_waitcnt lgkmcnt(0)
	s_barrier
	ds_read_b128 v[28:31], v252
	ds_read_b128 v[116:119], v252 offset:8640
	ds_read_b128 v[112:115], v252 offset:17280
	;; [unrolled: 1-line block ×29, first 2 shown]
	global_load_dwordx4 v[126:129], v[122:123], off offset:1440
	global_load_dwordx4 v[144:147], v[122:123], off offset:1424
	;; [unrolled: 1-line block ×4, first 2 shown]
	s_movk_i32 s29, 0x50
	s_waitcnt vmcnt(3) lgkmcnt(14)
	v_mul_f64 v[174:175], v[104:105], v[128:129]
	s_waitcnt vmcnt(2)
	v_mul_f64 v[160:161], v[108:109], v[146:147]
	s_waitcnt vmcnt(1)
	;; [unrolled: 2-line block ×3, first 2 shown]
	v_mul_f64 v[124:125], v[118:119], v[154:155]
	v_fma_f64 v[140:141], v[116:117], v[152:153], -v[124:125]
	v_mul_f64 v[156:157], v[116:117], v[154:155]
	v_mul_f64 v[116:117], v[114:115], v[150:151]
	v_fma_f64 v[164:165], v[112:113], v[148:149], -v[116:117]
	v_mul_f64 v[112:113], v[110:111], v[146:147]
	v_fma_f64 v[158:159], v[108:109], v[144:145], -v[112:113]
	v_mul_f64 v[108:109], v[106:107], v[128:129]
	v_fma_f64 v[172:173], v[104:105], v[126:127], -v[108:109]
	v_fmac_f64_e32 v[174:175], v[106:107], v[126:127]
	global_load_dwordx4 v[106:109], v[122:123], off offset:1456
	v_fmac_f64_e32 v[156:157], v[118:119], v[152:153]
	v_fmac_f64_e32 v[166:167], v[114:115], v[148:149]
	;; [unrolled: 1-line block ×3, first 2 shown]
	v_accvgpr_write_b32 a80, v126
	v_accvgpr_write_b32 a104, v148
	;; [unrolled: 1-line block ×16, first 2 shown]
	s_waitcnt vmcnt(0)
	v_mul_f64 v[104:105], v[102:103], v[108:109]
	v_fma_f64 v[168:169], v[100:101], v[106:107], -v[104:105]
	v_mul_f64 v[170:171], v[100:101], v[108:109]
	v_mul_lo_u16_sdwa v100, v136, s30 dst_sel:DWORD dst_unused:UNUSED_PAD src0_sel:BYTE_0 src1_sel:DWORD
	v_lshrrev_b16_e32 v139, 14, v100
	v_mul_lo_u16_e32 v100, 0x5a, v139
	v_sub_u16_e32 v100, v136, v100
	v_and_b32_e32 v178, 0xff, v100
	v_accvgpr_write_b32 a100, v106
	v_mad_u64_u32 v[100:101], s[30:31], v178, s29, v[120:121]
	v_fmac_f64_e32 v[170:171], v[102:103], v[106:107]
	v_accvgpr_write_b32 a101, v107
	v_accvgpr_write_b32 a102, v108
	;; [unrolled: 1-line block ×3, first 2 shown]
	global_load_dwordx4 v[104:107], v[100:101], off offset:1440
	global_load_dwordx4 v[108:111], v[100:101], off offset:1424
	global_load_dwordx4 v[112:115], v[100:101], off offset:1408
	global_load_dwordx4 v[116:119], v[100:101], off offset:1392
	s_movk_i32 s30, 0x2d83
	s_waitcnt vmcnt(3)
	v_mul_f64 v[154:155], v[84:85], v[106:107]
	s_waitcnt vmcnt(2)
	v_mul_f64 v[136:137], v[88:89], v[110:111]
	;; [unrolled: 2-line block ×4, first 2 shown]
	v_fma_f64 v[126:127], v[96:97], v[116:117], -v[102:103]
	v_mul_f64 v[128:129], v[96:97], v[118:119]
	v_mul_f64 v[96:97], v[94:95], v[114:115]
	v_fma_f64 v[148:149], v[92:93], v[112:113], -v[96:97]
	v_mul_f64 v[92:93], v[90:91], v[110:111]
	v_fma_f64 v[130:131], v[88:89], v[108:109], -v[92:93]
	;; [unrolled: 2-line block ×3, first 2 shown]
	v_fmac_f64_e32 v[154:155], v[86:87], v[104:105]
	global_load_dwordx4 v[86:89], v[100:101], off offset:1456
	v_fmac_f64_e32 v[128:129], v[98:99], v[116:117]
	v_fmac_f64_e32 v[150:151], v[94:95], v[112:113]
	;; [unrolled: 1-line block ×3, first 2 shown]
	v_accvgpr_write_b32 a56, v112
	v_accvgpr_write_b32 a60, v108
	;; [unrolled: 1-line block ×16, first 2 shown]
	s_waitcnt vmcnt(0)
	v_mul_f64 v[84:85], v[82:83], v[88:89]
	v_fma_f64 v[144:145], v[80:81], v[86:87], -v[84:85]
	v_mul_f64 v[146:147], v[80:81], v[88:89]
	v_mul_u32_u24_sdwa v80, v134, s30 dst_sel:DWORD dst_unused:UNUSED_PAD src0_sel:WORD_0 src1_sel:DWORD
	v_lshrrev_b32_e32 v143, 20, v80
	v_mul_lo_u16_e32 v80, 0x5a, v143
	v_sub_u16_e32 v179, v134, v80
	v_mul_lo_u16_e32 v80, 0x50, v179
	v_mov_b32_e32 v81, v253
	v_accvgpr_write_b32 a76, v86
	v_lshl_add_u64 v[80:81], s[6:7], 0, v[80:81]
	v_fmac_f64_e32 v[146:147], v[82:83], v[86:87]
	v_accvgpr_write_b32 a77, v87
	v_accvgpr_write_b32 a78, v88
	;; [unrolled: 1-line block ×3, first 2 shown]
	global_load_dwordx4 v[84:87], v[80:81], off offset:1440
	global_load_dwordx4 v[88:91], v[80:81], off offset:1424
	;; [unrolled: 1-line block ×4, first 2 shown]
	s_waitcnt vmcnt(3)
	v_accvgpr_write_b32 a99, v87
	v_accvgpr_write_b32 a98, v86
	s_waitcnt vmcnt(1)
	v_mul_f64 v[124:125], v[72:73], v[94:95]
	s_waitcnt vmcnt(0)
	v_mul_f64 v[82:83], v[78:79], v[98:99]
	v_fma_f64 v[122:123], v[76:77], v[96:97], -v[82:83]
	global_load_dwordx4 v[80:83], v[80:81], off offset:1456
	v_mul_f64 v[76:77], v[76:77], v[98:99]
	v_fmac_f64_e32 v[76:77], v[78:79], v[96:97]
	v_mul_f64 v[78:79], v[74:75], v[94:95]
	v_fma_f64 v[78:79], v[72:73], v[92:93], -v[78:79]
	v_mul_f64 v[72:73], v[70:71], v[90:91]
	v_fma_f64 v[72:73], v[68:69], v[88:89], -v[72:73]
	v_mul_f64 v[68:69], v[68:69], v[90:91]
	v_fmac_f64_e32 v[68:69], v[70:71], v[88:89]
	s_waitcnt lgkmcnt(13)
	v_mul_f64 v[70:71], v[66:67], v[86:87]
	v_fmac_f64_e32 v[124:125], v[74:75], v[92:93]
	v_fma_f64 v[70:71], v[64:65], v[84:85], -v[70:71]
	v_mul_f64 v[74:75], v[64:65], v[86:87]
	v_accvgpr_write_b32 a64, v96
	v_accvgpr_write_b32 a68, v92
	;; [unrolled: 1-line block ×8, first 2 shown]
	v_fmac_f64_e32 v[74:75], v[66:67], v[84:85]
	v_accvgpr_write_b32 a97, v85
	v_accvgpr_write_b32 a96, v84
	;; [unrolled: 1-line block ×6, first 2 shown]
	s_waitcnt vmcnt(0) lgkmcnt(12)
	v_mul_f64 v[64:65], v[62:63], v[82:83]
	v_fma_f64 v[64:65], v[60:61], v[80:81], -v[64:65]
	v_mul_f64 v[60:61], v[60:61], v[82:83]
	v_fmac_f64_e32 v[60:61], v[62:63], v[80:81]
	v_mul_u32_u24_sdwa v62, v138, s30 dst_sel:DWORD dst_unused:UNUSED_PAD src0_sel:WORD_0 src1_sel:DWORD
	v_lshrrev_b32_e32 v134, 20, v62
	v_mul_lo_u16_e32 v62, 0x5a, v134
	v_sub_u16_e32 v180, v138, v62
	v_mul_lo_u16_e32 v62, 0x50, v180
	v_mov_b32_e32 v63, v253
	v_accvgpr_write_b32 a127, v83
	v_lshl_add_u64 v[62:63], s[6:7], 0, v[62:63]
	v_accvgpr_write_b32 a126, v82
	v_accvgpr_write_b32 a125, v81
	;; [unrolled: 1-line block ×3, first 2 shown]
	global_load_dwordx4 v[84:87], v[62:63], off offset:1440
	global_load_dwordx4 v[80:83], v[62:63], off offset:1424
	;; [unrolled: 1-line block ×4, first 2 shown]
	s_waitcnt vmcnt(3)
	v_accvgpr_write_b32 a143, v87
	v_accvgpr_write_b32 a142, v86
	;; [unrolled: 1-line block ×3, first 2 shown]
	s_waitcnt vmcnt(0) lgkmcnt(10)
	v_mul_f64 v[66:67], v[58:59], v[100:101]
	v_mul_f64 v[92:93], v[56:57], v[100:101]
	v_accvgpr_write_b32 a84, v98
	v_fma_f64 v[90:91], v[56:57], v[98:99], -v[66:67]
	v_fmac_f64_e32 v[92:93], v[58:59], v[98:99]
	v_accvgpr_write_b32 a85, v99
	v_accvgpr_write_b32 a86, v100
	v_accvgpr_write_b32 a87, v101
	v_mov_b64_e32 v[98:99], v[96:97]
	v_mov_b64_e32 v[96:97], v[94:95]
	s_waitcnt lgkmcnt(9)
	v_mul_f64 v[56:57], v[54:55], v[98:99]
	v_mul_f64 v[94:95], v[52:53], v[98:99]
	v_fma_f64 v[88:89], v[52:53], v[96:97], -v[56:57]
	v_fmac_f64_e32 v[94:95], v[54:55], v[96:97]
	v_mov_b64_e32 v[54:55], v[80:81]
	v_mov_b64_e32 v[56:57], v[82:83]
	v_accvgpr_write_b32 a115, v99
	s_waitcnt lgkmcnt(8)
	v_mul_f64 v[52:53], v[50:51], v[56:57]
	v_accvgpr_write_b32 a114, v98
	v_accvgpr_write_b32 a113, v97
	;; [unrolled: 1-line block ×3, first 2 shown]
	v_fma_f64 v[80:81], v[48:49], v[54:55], -v[52:53]
	v_mul_f64 v[82:83], v[48:49], v[56:57]
	s_waitcnt lgkmcnt(7)
	v_mul_f64 v[48:49], v[46:47], v[86:87]
	v_mul_f64 v[98:99], v[44:45], v[86:87]
	v_fma_f64 v[96:97], v[44:45], v[84:85], -v[48:49]
	v_fmac_f64_e32 v[98:99], v[46:47], v[84:85]
	global_load_dwordx4 v[46:49], v[62:63], off offset:1456
	v_accvgpr_write_b32 a140, v84
	v_accvgpr_write_b32 a123, v57
	v_fmac_f64_e32 v[82:83], v[50:51], v[54:55]
	v_accvgpr_write_b32 a122, v56
	v_accvgpr_write_b32 a121, v55
	v_accvgpr_write_b32 a120, v54
	s_waitcnt vmcnt(0) lgkmcnt(6)
	v_mul_f64 v[44:45], v[42:43], v[48:49]
	v_fma_f64 v[84:85], v[40:41], v[46:47], -v[44:45]
	v_mul_f64 v[86:87], v[40:41], v[48:49]
	v_mul_u32_u24_sdwa v40, v142, s30 dst_sel:DWORD dst_unused:UNUSED_PAD src0_sel:WORD_0 src1_sel:DWORD
	v_lshrrev_b32_e32 v138, 20, v40
	v_mul_lo_u16_e32 v40, 0x5a, v138
	v_sub_u16_e32 v142, v142, v40
	v_mul_lo_u16_e32 v40, 0x50, v142
	v_mov_b32_e32 v41, v253
	v_accvgpr_write_b32 a153, v49
	v_lshl_add_u64 v[40:41], s[6:7], 0, v[40:41]
	v_fmac_f64_e32 v[86:87], v[42:43], v[46:47]
	v_accvgpr_write_b32 a152, v48
	v_accvgpr_write_b32 a151, v47
	;; [unrolled: 1-line block ×3, first 2 shown]
	global_load_dwordx4 v[44:47], v[40:41], off offset:1440
	global_load_dwordx4 v[48:51], v[40:41], off offset:1424
	;; [unrolled: 1-line block ×4, first 2 shown]
	s_movk_i32 s6, 0x59
	v_cmp_lt_u16_e32 vcc, s6, v162
	s_movk_i32 s6, 0x21c
	s_waitcnt vmcnt(3) lgkmcnt(1)
	v_mul_f64 v[118:119], v[20:21], v[46:47]
	s_waitcnt vmcnt(2)
	v_mul_f64 v[102:103], v[24:25], v[50:51]
	s_waitcnt vmcnt(1)
	;; [unrolled: 2-line block ×3, first 2 shown]
	v_mul_f64 v[42:43], v[38:39], v[58:59]
	v_fma_f64 v[110:111], v[36:37], v[56:57], -v[42:43]
	v_mul_f64 v[112:113], v[36:37], v[58:59]
	v_mul_f64 v[36:37], v[34:35], v[54:55]
	v_fma_f64 v[108:109], v[32:33], v[52:53], -v[36:37]
	v_mul_f64 v[32:33], v[26:27], v[50:51]
	v_fma_f64 v[100:101], v[24:25], v[48:49], -v[32:33]
	;; [unrolled: 2-line block ×3, first 2 shown]
	v_fmac_f64_e32 v[118:119], v[22:23], v[44:45]
	global_load_dwordx4 v[22:25], v[40:41], off offset:1456
	v_fmac_f64_e32 v[114:115], v[34:35], v[52:53]
	v_fmac_f64_e32 v[112:113], v[38:39], v[56:57]
	;; [unrolled: 1-line block ×3, first 2 shown]
	v_accvgpr_write_b32 a135, v51
	v_accvgpr_write_b32 a139, v47
	;; [unrolled: 1-line block ×16, first 2 shown]
	s_waitcnt lgkmcnt(0)
	s_barrier
	s_waitcnt vmcnt(0)
	v_mul_f64 v[20:21], v[18:19], v[24:25]
	v_fma_f64 v[104:105], v[16:17], v[22:23], -v[20:21]
	v_mul_f64 v[106:107], v[16:17], v[24:25]
	v_add_f64 v[16:17], v[28:29], v[164:165]
	v_add_f64 v[32:33], v[16:17], v[172:173]
	;; [unrolled: 1-line block ×3, first 2 shown]
	v_fmac_f64_e32 v[28:29], -0.5, v[16:17]
	v_add_f64 v[16:17], v[166:167], -v[174:175]
	v_fma_f64 v[34:35], s[2:3], v[16:17], v[28:29]
	v_fmac_f64_e32 v[28:29], s[4:5], v[16:17]
	v_add_f64 v[16:17], v[30:31], v[166:167]
	v_add_f64 v[38:39], v[16:17], v[174:175]
	v_add_f64 v[16:17], v[166:167], v[174:175]
	v_fmac_f64_e32 v[30:31], -0.5, v[16:17]
	v_add_f64 v[16:17], v[164:165], -v[172:173]
	v_fma_f64 v[40:41], s[4:5], v[16:17], v[30:31]
	v_fmac_f64_e32 v[30:31], s[2:3], v[16:17]
	v_add_f64 v[16:17], v[140:141], v[158:159]
	v_add_f64 v[36:37], v[16:17], v[168:169]
	;; [unrolled: 1-line block ×3, first 2 shown]
	v_fmac_f64_e32 v[140:141], -0.5, v[16:17]
	v_add_f64 v[16:17], v[160:161], -v[170:171]
	v_fmac_f64_e32 v[106:107], v[18:19], v[22:23]
	v_fma_f64 v[18:19], s[2:3], v[16:17], v[140:141]
	v_fmac_f64_e32 v[140:141], s[4:5], v[16:17]
	v_add_f64 v[16:17], v[156:157], v[160:161]
	v_add_f64 v[42:43], v[16:17], v[170:171]
	;; [unrolled: 1-line block ×3, first 2 shown]
	v_fmac_f64_e32 v[156:157], -0.5, v[16:17]
	v_add_f64 v[16:17], v[158:159], -v[168:169]
	v_fma_f64 v[26:27], s[4:5], v[16:17], v[156:157]
	v_mul_f64 v[44:45], v[26:27], s[2:3]
	v_mul_f64 v[48:49], v[18:19], s[4:5]
	v_fmac_f64_e32 v[44:45], 0.5, v[18:19]
	v_fmac_f64_e32 v[48:49], 0.5, v[26:27]
	v_fmac_f64_e32 v[156:157], s[2:3], v[16:17]
	v_add_f64 v[20:21], v[32:33], v[36:37]
	v_add_f64 v[16:17], v[34:35], v[44:45]
	;; [unrolled: 1-line block ×3, first 2 shown]
	v_add_f64 v[36:37], v[32:33], -v[36:37]
	v_add_f64 v[32:33], v[34:35], -v[44:45]
	;; [unrolled: 1-line block ×3, first 2 shown]
	v_add_f64 v[40:41], v[12:13], v[148:149]
	v_add_f64 v[52:53], v[40:41], v[152:153]
	;; [unrolled: 1-line block ×3, first 2 shown]
	v_fmac_f64_e32 v[12:13], -0.5, v[40:41]
	v_add_f64 v[40:41], v[150:151], -v[154:155]
	v_fma_f64 v[54:55], s[2:3], v[40:41], v[12:13]
	v_fmac_f64_e32 v[12:13], s[4:5], v[40:41]
	v_add_f64 v[40:41], v[14:15], v[150:151]
	v_add_f64 v[58:59], v[40:41], v[154:155]
	;; [unrolled: 1-line block ×3, first 2 shown]
	v_fmac_f64_e32 v[14:15], -0.5, v[40:41]
	v_add_f64 v[40:41], v[148:149], -v[152:153]
	v_fma_f64 v[62:63], s[4:5], v[40:41], v[14:15]
	v_fmac_f64_e32 v[14:15], s[2:3], v[40:41]
	v_add_f64 v[40:41], v[126:127], v[130:131]
	v_add_f64 v[56:57], v[40:41], v[144:145]
	;; [unrolled: 1-line block ×3, first 2 shown]
	v_accvgpr_write_b32 a147, v25
	v_fmac_f64_e32 v[126:127], -0.5, v[40:41]
	v_add_f64 v[40:41], v[136:137], -v[146:147]
	v_accvgpr_write_b32 a146, v24
	v_accvgpr_write_b32 a145, v23
	;; [unrolled: 1-line block ×3, first 2 shown]
	v_add_f64 v[22:23], v[38:39], v[42:43]
	v_add_f64 v[38:39], v[38:39], -v[42:43]
	v_fma_f64 v[42:43], s[2:3], v[40:41], v[126:127]
	v_fmac_f64_e32 v[126:127], s[4:5], v[40:41]
	v_add_f64 v[40:41], v[128:129], v[136:137]
	v_mul_f64 v[50:51], v[156:157], -0.5
	v_add_f64 v[66:67], v[40:41], v[146:147]
	v_add_f64 v[40:41], v[136:137], v[146:147]
	v_fmac_f64_e32 v[50:51], s[4:5], v[140:141]
	v_fmac_f64_e32 v[128:129], -0.5, v[40:41]
	v_add_f64 v[40:41], v[130:131], -v[144:145]
	v_add_f64 v[26:27], v[30:31], v[50:51]
	v_add_f64 v[30:31], v[30:31], -v[50:51]
	v_fma_f64 v[50:51], s[4:5], v[40:41], v[128:129]
	v_mul_f64 v[46:47], v[140:141], -0.5
	v_mul_f64 v[130:131], v[50:51], s[2:3]
	v_mul_f64 v[140:141], v[42:43], s[4:5]
	v_fmac_f64_e32 v[128:129], s[2:3], v[40:41]
	v_fmac_f64_e32 v[130:131], 0.5, v[42:43]
	v_mul_f64 v[136:137], v[126:127], -0.5
	v_fmac_f64_e32 v[140:141], 0.5, v[50:51]
	v_add_f64 v[44:45], v[52:53], v[56:57]
	v_add_f64 v[40:41], v[54:55], v[130:131]
	v_fmac_f64_e32 v[136:137], s[2:3], v[128:129]
	v_add_f64 v[42:43], v[62:63], v[140:141]
	v_mul_f64 v[128:129], v[128:129], -0.5
	v_add_f64 v[56:57], v[52:53], -v[56:57]
	v_add_f64 v[52:53], v[54:55], -v[130:131]
	;; [unrolled: 1-line block ×3, first 2 shown]
	v_add_f64 v[62:63], v[8:9], v[78:79]
	v_fmac_f64_e32 v[128:129], s[4:5], v[126:127]
	v_add_f64 v[126:127], v[62:63], v[70:71]
	v_add_f64 v[62:63], v[78:79], v[70:71]
	v_fmac_f64_e32 v[8:9], -0.5, v[62:63]
	v_add_f64 v[62:63], v[124:125], -v[74:75]
	v_add_f64 v[50:51], v[14:15], v[128:129]
	v_add_f64 v[14:15], v[14:15], -v[128:129]
	v_fma_f64 v[128:129], s[2:3], v[62:63], v[8:9]
	v_fmac_f64_e32 v[8:9], s[4:5], v[62:63]
	v_add_f64 v[62:63], v[10:11], v[124:125]
	v_add_f64 v[130:131], v[62:63], v[74:75]
	v_add_f64 v[62:63], v[124:125], v[74:75]
	v_fmac_f64_e32 v[10:11], -0.5, v[62:63]
	v_add_f64 v[62:63], v[78:79], -v[70:71]
	v_fma_f64 v[74:75], s[4:5], v[62:63], v[10:11]
	v_fmac_f64_e32 v[10:11], s[2:3], v[62:63]
	v_add_f64 v[62:63], v[122:123], v[72:73]
	v_add_f64 v[78:79], v[62:63], v[64:65]
	v_add_f64 v[62:63], v[72:73], v[64:65]
	v_fmac_f64_e32 v[122:123], -0.5, v[62:63]
	;; [unrolled: 7-line block ×3, first 2 shown]
	v_add_f64 v[60:61], v[72:73], -v[64:65]
	v_fmac_f64_e32 v[46:47], s[2:3], v[156:157]
	v_add_f64 v[48:49], v[12:13], v[136:137]
	v_add_f64 v[12:13], v[12:13], -v[136:137]
	v_fma_f64 v[62:63], s[4:5], v[60:61], v[76:77]
	v_fmac_f64_e32 v[76:77], s[2:3], v[60:61]
	v_mul_f64 v[136:137], v[122:123], -0.5
	v_add_f64 v[24:25], v[28:29], v[46:47]
	v_add_f64 v[28:29], v[28:29], -v[46:47]
	v_add_f64 v[46:47], v[58:59], v[66:67]
	v_add_f64 v[58:59], v[58:59], -v[66:67]
	v_add_f64 v[64:65], v[126:127], v[78:79]
	v_fmac_f64_e32 v[136:137], s[2:3], v[76:77]
	v_add_f64 v[66:67], v[130:131], v[124:125]
	v_mul_f64 v[144:145], v[76:77], -0.5
	v_add_f64 v[76:77], v[126:127], -v[78:79]
	v_add_f64 v[78:79], v[130:131], -v[124:125]
	v_add_f64 v[124:125], v[88:89], v[96:97]
	v_fmac_f64_e32 v[144:145], s[4:5], v[122:123]
	v_add_f64 v[122:123], v[4:5], v[88:89]
	v_fmac_f64_e32 v[4:5], -0.5, v[124:125]
	v_add_f64 v[124:125], v[94:95], -v[98:99]
	v_fma_f64 v[126:127], s[2:3], v[124:125], v[4:5]
	v_fmac_f64_e32 v[4:5], s[4:5], v[124:125]
	v_add_f64 v[124:125], v[6:7], v[94:95]
	v_add_f64 v[94:95], v[94:95], v[98:99]
	v_fmac_f64_e32 v[6:7], -0.5, v[94:95]
	v_add_f64 v[88:89], v[88:89], -v[96:97]
	v_fma_f64 v[94:95], s[4:5], v[88:89], v[6:7]
	v_fmac_f64_e32 v[6:7], s[2:3], v[88:89]
	v_add_f64 v[88:89], v[90:91], v[80:81]
	v_add_f64 v[122:123], v[122:123], v[96:97]
	;; [unrolled: 1-line block ×4, first 2 shown]
	v_fmac_f64_e32 v[90:91], -0.5, v[88:89]
	v_add_f64 v[88:89], v[82:83], -v[86:87]
	v_add_f64 v[124:125], v[124:125], v[98:99]
	v_fma_f64 v[98:99], s[2:3], v[88:89], v[90:91]
	v_fmac_f64_e32 v[90:91], s[4:5], v[88:89]
	v_add_f64 v[88:89], v[92:93], v[82:83]
	v_add_f64 v[82:83], v[82:83], v[86:87]
	v_mul_f64 v[72:73], v[62:63], s[2:3]
	v_fmac_f64_e32 v[92:93], -0.5, v[82:83]
	v_add_f64 v[80:81], v[80:81], -v[84:85]
	v_fmac_f64_e32 v[72:73], 0.5, v[70:71]
	v_mul_f64 v[140:141], v[70:71], s[4:5]
	v_fma_f64 v[82:83], s[4:5], v[80:81], v[92:93]
	v_add_f64 v[60:61], v[128:129], v[72:73]
	v_fmac_f64_e32 v[140:141], 0.5, v[62:63]
	v_add_f64 v[72:73], v[128:129], -v[72:73]
	v_add_f64 v[128:129], v[88:89], v[86:87]
	v_mul_f64 v[130:131], v[82:83], s[2:3]
	v_add_f64 v[62:63], v[74:75], v[140:141]
	v_add_f64 v[74:75], v[74:75], -v[140:141]
	v_fmac_f64_e32 v[130:131], 0.5, v[98:99]
	v_add_f64 v[86:87], v[124:125], v[128:129]
	v_mul_f64 v[140:141], v[98:99], s[4:5]
	v_add_f64 v[98:99], v[124:125], -v[128:129]
	v_add_f64 v[124:125], v[108:109], v[116:117]
	v_add_f64 v[68:69], v[8:9], v[136:137]
	v_add_f64 v[8:9], v[8:9], -v[136:137]
	v_fmac_f64_e32 v[92:93], s[2:3], v[80:81]
	v_add_f64 v[84:85], v[122:123], v[96:97]
	v_mul_f64 v[136:137], v[90:91], -0.5
	v_add_f64 v[96:97], v[122:123], -v[96:97]
	v_add_f64 v[122:123], v[0:1], v[108:109]
	v_fmac_f64_e32 v[0:1], -0.5, v[124:125]
	v_add_f64 v[124:125], v[114:115], -v[118:119]
	v_add_f64 v[70:71], v[10:11], v[144:145]
	v_add_f64 v[10:11], v[10:11], -v[144:145]
	v_add_f64 v[80:81], v[126:127], v[130:131]
	v_fmac_f64_e32 v[136:137], s[2:3], v[92:93]
	v_mul_f64 v[144:145], v[92:93], -0.5
	v_add_f64 v[92:93], v[126:127], -v[130:131]
	v_fma_f64 v[126:127], s[2:3], v[124:125], v[0:1]
	v_fmac_f64_e32 v[0:1], s[4:5], v[124:125]
	v_add_f64 v[124:125], v[2:3], v[114:115]
	v_add_f64 v[114:115], v[114:115], v[118:119]
	v_fmac_f64_e32 v[2:3], -0.5, v[114:115]
	v_add_f64 v[108:109], v[108:109], -v[116:117]
	v_fma_f64 v[114:115], s[4:5], v[108:109], v[2:3]
	v_fmac_f64_e32 v[2:3], s[2:3], v[108:109]
	v_add_f64 v[108:109], v[110:111], v[100:101]
	v_add_f64 v[122:123], v[122:123], v[116:117]
	;; [unrolled: 1-line block ×4, first 2 shown]
	v_add_f64 v[100:101], v[100:101], -v[104:105]
	v_add_f64 v[104:105], v[122:123], v[116:117]
	v_add_f64 v[116:117], v[122:123], -v[116:117]
	v_mov_b32_e32 v122, 0x21c
	v_cndmask_b32_e32 v122, 0, v122, vcc
	v_add_lshl_u32 v206, v135, v122, 4
	ds_write_b128 v206, v[20:23]
	ds_write_b128 v206, v[16:19] offset:1440
	ds_write_b128 v206, v[24:27] offset:2880
	;; [unrolled: 1-line block ×5, first 2 shown]
	v_mul_u32_u24_e32 v16, 0x21c, v139
	v_add_lshl_u32 v207, v16, v178, 4
	v_fmac_f64_e32 v[110:111], -0.5, v[108:109]
	v_add_f64 v[108:109], v[102:103], -v[106:107]
	ds_write_b128 v207, v[44:47]
	ds_write_b128 v207, v[40:43] offset:1440
	ds_write_b128 v207, v[48:51] offset:2880
	;; [unrolled: 1-line block ×5, first 2 shown]
	v_mad_legacy_u16 v12, v143, s6, v179
	v_add_f64 v[124:125], v[124:125], v[118:119]
	v_fma_f64 v[118:119], s[2:3], v[108:109], v[110:111]
	v_fmac_f64_e32 v[110:111], s[4:5], v[108:109]
	v_add_f64 v[108:109], v[112:113], v[102:103]
	v_add_f64 v[102:103], v[102:103], v[106:107]
	v_lshlrev_b32_e32 v253, 4, v12
	v_fmac_f64_e32 v[112:113], -0.5, v[102:103]
	ds_write_b128 v253, v[64:67]
	ds_write_b128 v253, v[60:63] offset:1440
	ds_write_b128 v253, v[68:71] offset:2880
	;; [unrolled: 1-line block ×5, first 2 shown]
	v_mad_legacy_u16 v8, v134, s6, v180
	v_add_f64 v[88:89], v[4:5], v[136:137]
	v_fmac_f64_e32 v[140:141], 0.5, v[82:83]
	v_fmac_f64_e32 v[144:145], s[4:5], v[90:91]
	v_add_f64 v[4:5], v[4:5], -v[136:137]
	v_fma_f64 v[102:103], s[4:5], v[100:101], v[112:113]
	v_fmac_f64_e32 v[112:113], s[2:3], v[100:101]
	v_lshlrev_b32_e32 v255, 4, v8
	v_add_f64 v[82:83], v[94:95], v[140:141]
	v_add_f64 v[90:91], v[6:7], v[144:145]
	v_add_f64 v[94:95], v[94:95], -v[140:141]
	v_add_f64 v[6:7], v[6:7], -v[144:145]
	v_mul_f64 v[130:131], v[102:103], s[2:3]
	v_mul_f64 v[136:137], v[110:111], -0.5
	v_mul_f64 v[140:141], v[118:119], s[4:5]
	v_mul_f64 v[144:145], v[112:113], -0.5
	ds_write_b128 v255, v[84:87]
	ds_write_b128 v255, v[80:83] offset:1440
	ds_write_b128 v255, v[88:91] offset:2880
	ds_write_b128 v255, v[96:99] offset:4320
	ds_write_b128 v255, v[92:95] offset:5760
	ds_write_b128 v255, v[4:7] offset:7200
	v_mad_legacy_u16 v4, v138, s6, v142
	v_mad_u64_u32 v[152:153], s[6:7], v162, s29, v[120:121]
	v_add_f64 v[128:129], v[108:109], v[106:107]
	v_fmac_f64_e32 v[130:131], 0.5, v[118:119]
	v_fmac_f64_e32 v[136:137], s[2:3], v[112:113]
	v_fmac_f64_e32 v[140:141], 0.5, v[102:103]
	v_fmac_f64_e32 v[144:145], s[4:5], v[110:111]
	v_add_co_u32_e32 v120, vcc, s28, v152
	v_add_f64 v[100:101], v[126:127], v[130:131]
	v_add_f64 v[108:109], v[0:1], v[136:137]
	;; [unrolled: 1-line block ×5, first 2 shown]
	v_add_f64 v[112:113], v[126:127], -v[130:131]
	v_add_f64 v[0:1], v[0:1], -v[136:137]
	;; [unrolled: 1-line block ×5, first 2 shown]
	v_lshlrev_b32_e32 v4, 4, v4
	s_mov_b64 s[6:7], 0x2190
	v_addc_co_u32_e32 v121, vcc, 0, v153, vcc
	scratch_store_dword off, v4, off offset:584 ; 4-byte Folded Spill
	ds_write_b128 v4, v[104:107]
	ds_write_b128 v4, v[100:103] offset:1440
	ds_write_b128 v4, v[108:111] offset:2880
	;; [unrolled: 1-line block ×5, first 2 shown]
	s_waitcnt lgkmcnt(0)
	s_barrier
	ds_read_b128 v[16:19], v252
	ds_read_b128 v[116:119], v252 offset:8640
	ds_read_b128 v[112:115], v252 offset:17280
	;; [unrolled: 1-line block ×29, first 2 shown]
	v_lshl_add_u64 v[32:33], v[152:153], 0, s[6:7]
	global_load_dwordx4 v[142:145], v[120:121], off offset:400
	global_load_dwordx4 v[122:125], v[32:33], off offset:48
	;; [unrolled: 1-line block ×5, first 2 shown]
	s_mov_b64 s[6:7], 0x4350
	s_waitcnt vmcnt(4) lgkmcnt(14)
	v_mul_f64 v[32:33], v[118:119], v[144:145]
	v_fma_f64 v[32:33], v[116:117], v[142:143], -v[32:33]
	v_mul_f64 v[34:35], v[116:117], v[144:145]
	s_waitcnt vmcnt(1)
	v_mul_f64 v[116:117], v[114:115], v[136:137]
	v_mul_f64 v[150:151], v[112:113], v[136:137]
	v_accvgpr_write_b32 a12, v134
	v_fma_f64 v[116:117], v[112:113], v[134:135], -v[116:117]
	v_fmac_f64_e32 v[150:151], v[114:115], v[134:135]
	v_accvgpr_write_b32 a13, v135
	v_accvgpr_write_b32 a14, v136
	;; [unrolled: 1-line block ×3, first 2 shown]
	v_mov_b64_e32 v[136:137], v[128:129]
	v_mov_b64_e32 v[134:135], v[126:127]
	v_mul_f64 v[112:113], v[110:111], v[136:137]
	v_fma_f64 v[128:129], v[108:109], v[134:135], -v[112:113]
	v_mul_f64 v[146:147], v[108:109], v[136:137]
	v_mul_f64 v[108:109], v[106:107], v[124:125]
	s_waitcnt vmcnt(0)
	v_mul_f64 v[154:155], v[100:101], v[188:189]
	v_fma_f64 v[108:109], v[104:105], v[122:123], -v[108:109]
	v_mul_f64 v[158:159], v[104:105], v[124:125]
	v_mul_f64 v[104:105], v[102:103], v[188:189]
	v_fmac_f64_e32 v[154:155], v[102:103], v[186:187]
	v_add_co_u32_e32 v102, vcc, s25, v152
	v_fmac_f64_e32 v[146:147], v[110:111], v[134:135]
	s_nop 0
	v_addc_co_u32_e32 v103, vcc, 0, v153, vcc
	v_fma_f64 v[104:105], v[100:101], v[186:187], -v[104:105]
	v_lshl_add_u64 v[100:101], v[152:153], 0, s[6:7]
	global_load_dwordx4 v[168:171], v[102:103], off offset:848
	global_load_dwordx4 v[110:113], v[100:101], off offset:48
	;; [unrolled: 1-line block ×5, first 2 shown]
	v_accvgpr_write_b32 a4, v122
	v_accvgpr_write_b32 a20, v142
	;; [unrolled: 1-line block ×5, first 2 shown]
	v_fmac_f64_e32 v[34:35], v[118:119], v[142:143]
	v_accvgpr_write_b32 a21, v143
	v_accvgpr_write_b32 a22, v144
	v_accvgpr_write_b32 a23, v145
	v_accvgpr_write_b32 a8, v134
	v_accvgpr_write_b32 a9, v135
	v_accvgpr_write_b32 a10, v136
	v_accvgpr_write_b32 a11, v137
	s_mov_b64 s[6:7], 0x6510
	v_fmac_f64_e32 v[158:159], v[106:107], v[122:123]
	s_waitcnt vmcnt(4)
	v_mul_f64 v[100:101], v[98:99], v[170:171]
	v_fma_f64 v[124:125], v[96:97], v[168:169], -v[100:101]
	v_mul_f64 v[126:127], v[96:97], v[170:171]
	s_waitcnt vmcnt(1)
	v_mul_f64 v[96:97], v[94:95], v[166:167]
	v_fma_f64 v[96:97], v[92:93], v[164:165], -v[96:97]
	v_mul_f64 v[142:143], v[92:93], v[166:167]
	v_mul_f64 v[92:93], v[90:91], v[192:193]
	v_fma_f64 v[100:101], v[88:89], v[190:191], -v[92:93]
	v_mul_f64 v[130:131], v[88:89], v[192:193]
	v_mul_f64 v[88:89], v[86:87], v[112:113]
	s_waitcnt vmcnt(0)
	v_mul_f64 v[136:137], v[80:81], v[174:175]
	v_fma_f64 v[88:89], v[84:85], v[110:111], -v[88:89]
	v_mul_f64 v[160:161], v[84:85], v[112:113]
	v_mul_f64 v[84:85], v[82:83], v[174:175]
	v_fmac_f64_e32 v[136:137], v[82:83], v[172:173]
	v_add_co_u32_e32 v82, vcc, s27, v152
	v_fmac_f64_e32 v[130:131], v[90:91], v[190:191]
	s_nop 0
	v_addc_co_u32_e32 v83, vcc, 0, v153, vcc
	v_fma_f64 v[84:85], v[80:81], v[172:173], -v[84:85]
	v_lshl_add_u64 v[80:81], v[152:153], 0, s[6:7]
	global_load_dwordx4 v[178:181], v[82:83], off offset:1296
	global_load_dwordx4 v[90:93], v[80:81], off offset:48
	;; [unrolled: 1-line block ×5, first 2 shown]
	v_accvgpr_write_b32 a0, v110
	s_mov_b64 s[6:7], 0x86d0
	v_fmac_f64_e32 v[160:161], v[86:87], v[110:111]
	v_accvgpr_write_b32 a1, v111
	v_accvgpr_write_b32 a2, v112
	v_accvgpr_write_b32 a3, v113
	v_fmac_f64_e32 v[142:143], v[94:95], v[164:165]
	v_fmac_f64_e32 v[126:127], v[98:99], v[168:169]
	s_waitcnt vmcnt(4)
	v_mul_f64 v[80:81], v[78:79], v[180:181]
	v_fma_f64 v[120:121], v[76:77], v[178:179], -v[80:81]
	v_mul_f64 v[76:77], v[76:77], v[180:181]
	v_fmac_f64_e32 v[76:77], v[78:79], v[178:179]
	s_waitcnt vmcnt(1)
	v_mul_f64 v[78:79], v[74:75], v[184:185]
	v_fma_f64 v[78:79], v[72:73], v[182:183], -v[78:79]
	v_mul_f64 v[122:123], v[72:73], v[184:185]
	v_mul_f64 v[72:73], v[70:71], v[204:205]
	v_fma_f64 v[72:73], v[68:69], v[202:203], -v[72:73]
	v_mul_f64 v[68:69], v[68:69], v[204:205]
	v_fmac_f64_e32 v[122:123], v[74:75], v[182:183]
	v_fmac_f64_e32 v[68:69], v[70:71], v[202:203]
	s_waitcnt lgkmcnt(13)
	v_mul_f64 v[70:71], v[66:67], v[92:93]
	v_mul_f64 v[74:75], v[64:65], v[92:93]
	v_fma_f64 v[70:71], v[64:65], v[90:91], -v[70:71]
	v_fmac_f64_e32 v[74:75], v[66:67], v[90:91]
	s_waitcnt vmcnt(0) lgkmcnt(12)
	v_mul_f64 v[64:65], v[62:63], v[200:201]
	v_add_co_u32_e32 v66, vcc, s24, v152
	v_fma_f64 v[64:65], v[60:61], v[198:199], -v[64:65]
	v_mul_f64 v[60:61], v[60:61], v[200:201]
	v_addc_co_u32_e32 v67, vcc, 0, v153, vcc
	v_fmac_f64_e32 v[60:61], v[62:63], v[198:199]
	v_lshl_add_u64 v[62:63], v[152:153], 0, s[6:7]
	global_load_dwordx4 v[194:197], v[66:67], off offset:1744
	global_load_dwordx4 v[110:113], v[62:63], off offset:48
	;; [unrolled: 1-line block ×4, first 2 shown]
	v_accvgpr_write_b32 a16, v90
	v_accvgpr_write_b32 a17, v91
	v_accvgpr_write_b32 a18, v92
	v_accvgpr_write_b32 a19, v93
	s_mov_b64 s[6:7], 0xa890
	s_waitcnt vmcnt(3) lgkmcnt(10)
	v_mul_f64 v[62:63], v[58:59], v[196:197]
	v_fma_f64 v[90:91], v[56:57], v[194:195], -v[62:63]
	v_mul_f64 v[92:93], v[56:57], v[196:197]
	s_waitcnt vmcnt(0) lgkmcnt(9)
	v_mul_f64 v[56:57], v[54:55], v[222:223]
	v_mul_f64 v[94:95], v[52:53], v[222:223]
	v_fma_f64 v[134:135], v[52:53], v[220:221], -v[56:57]
	v_fmac_f64_e32 v[94:95], v[54:55], v[220:221]
	v_mov_b64_e32 v[54:55], v[80:81]
	v_mov_b64_e32 v[56:57], v[82:83]
	s_waitcnt lgkmcnt(8)
	v_mul_f64 v[52:53], v[50:51], v[56:57]
	v_fma_f64 v[148:149], v[48:49], v[54:55], -v[52:53]
	v_mul_f64 v[82:83], v[48:49], v[56:57]
	s_waitcnt lgkmcnt(7)
	v_mul_f64 v[48:49], v[46:47], v[112:113]
	v_mul_f64 v[98:99], v[44:45], v[112:113]
	v_fma_f64 v[80:81], v[44:45], v[110:111], -v[48:49]
	v_fmac_f64_e32 v[98:99], v[46:47], v[110:111]
	global_load_dwordx4 v[46:49], v[66:67], off offset:1808
	v_accvgpr_write_b32 a24, v54
	v_fmac_f64_e32 v[82:83], v[50:51], v[54:55]
	v_accvgpr_write_b32 a25, v55
	v_accvgpr_write_b32 a26, v56
	;; [unrolled: 1-line block ×7, first 2 shown]
	v_fmac_f64_e32 v[92:93], v[58:59], v[194:195]
	s_waitcnt vmcnt(0) lgkmcnt(6)
	v_mul_f64 v[86:87], v[40:41], v[48:49]
	v_mul_f64 v[44:45], v[42:43], v[48:49]
	v_fmac_f64_e32 v[86:87], v[42:43], v[46:47]
	v_add_co_u32_e32 v42, vcc, s26, v152
	v_accvgpr_write_b32 a36, v46
	s_nop 0
	v_addc_co_u32_e32 v43, vcc, 0, v153, vcc
	v_fma_f64 v[144:145], v[40:41], v[46:47], -v[44:45]
	v_accvgpr_write_b32 a37, v47
	v_accvgpr_write_b32 a38, v48
	;; [unrolled: 1-line block ×3, first 2 shown]
	v_lshl_add_u64 v[40:41], v[152:153], 0, s[6:7]
	global_load_dwordx4 v[248:251], v[42:43], off offset:2192
	global_load_dwordx4 v[44:47], v[40:41], off offset:48
	;; [unrolled: 1-line block ×4, first 2 shown]
	s_mov_b64 s[6:7], 0xca80
	s_waitcnt vmcnt(3) lgkmcnt(4)
	v_mul_f64 v[40:41], v[38:39], v[250:251]
	v_fma_f64 v[110:111], v[36:37], v[248:249], -v[40:41]
	v_mul_f64 v[112:113], v[36:37], v[250:251]
	s_waitcnt vmcnt(0) lgkmcnt(3)
	v_mul_f64 v[36:37], v[140:141], v[54:55]
	v_fma_f64 v[152:153], v[138:139], v[52:53], -v[36:37]
	s_waitcnt lgkmcnt(2)
	v_mul_f64 v[36:37], v[30:31], v[50:51]
	v_fma_f64 v[156:157], v[28:29], v[48:49], -v[36:37]
	v_mul_f64 v[102:103], v[28:29], v[50:51]
	s_waitcnt lgkmcnt(1)
	v_mul_f64 v[28:29], v[26:27], v[46:47]
	v_mul_f64 v[118:119], v[24:25], v[46:47]
	;; [unrolled: 1-line block ×3, first 2 shown]
	v_fma_f64 v[138:139], v[24:25], v[44:45], -v[28:29]
	v_fmac_f64_e32 v[118:119], v[26:27], v[44:45]
	global_load_dwordx4 v[26:29], v[42:43], off offset:2256
	v_fmac_f64_e32 v[114:115], v[140:141], v[52:53]
	v_fmac_f64_e32 v[112:113], v[38:39], v[248:249]
	v_accvgpr_write_b32 a44, v44
	v_accvgpr_write_b32 a45, v45
	;; [unrolled: 1-line block ×4, first 2 shown]
	v_fmac_f64_e32 v[102:103], v[30:31], v[48:49]
	v_accvgpr_write_b32 a40, v48
	v_accvgpr_write_b32 a28, v52
	;; [unrolled: 1-line block ×8, first 2 shown]
	s_waitcnt vmcnt(0) lgkmcnt(0)
	v_mul_f64 v[24:25], v[22:23], v[28:29]
	v_fma_f64 v[140:141], v[20:21], v[26:27], -v[24:25]
	v_mul_f64 v[106:107], v[20:21], v[28:29]
	v_add_f64 v[20:21], v[16:17], v[116:117]
	v_add_f64 v[36:37], v[20:21], v[108:109]
	;; [unrolled: 1-line block ×3, first 2 shown]
	v_fmac_f64_e32 v[16:17], -0.5, v[20:21]
	v_add_f64 v[20:21], v[150:151], -v[158:159]
	v_fma_f64 v[38:39], s[2:3], v[20:21], v[16:17]
	v_fmac_f64_e32 v[16:17], s[4:5], v[20:21]
	v_add_f64 v[20:21], v[18:19], v[150:151]
	v_add_f64 v[40:41], v[20:21], v[158:159]
	;; [unrolled: 1-line block ×3, first 2 shown]
	v_fmac_f64_e32 v[18:19], -0.5, v[20:21]
	v_add_f64 v[20:21], v[116:117], -v[108:109]
	v_fma_f64 v[42:43], s[4:5], v[20:21], v[18:19]
	v_fmac_f64_e32 v[18:19], s[2:3], v[20:21]
	v_add_f64 v[20:21], v[32:33], v[128:129]
	v_add_f64 v[44:45], v[20:21], v[104:105]
	;; [unrolled: 1-line block ×3, first 2 shown]
	v_fmac_f64_e32 v[32:33], -0.5, v[20:21]
	v_add_f64 v[20:21], v[146:147], -v[154:155]
	v_fmac_f64_e32 v[106:107], v[22:23], v[26:27]
	v_fma_f64 v[22:23], s[2:3], v[20:21], v[32:33]
	v_fmac_f64_e32 v[32:33], s[4:5], v[20:21]
	v_add_f64 v[20:21], v[34:35], v[146:147]
	v_add_f64 v[46:47], v[20:21], v[154:155]
	;; [unrolled: 1-line block ×3, first 2 shown]
	v_fmac_f64_e32 v[34:35], -0.5, v[20:21]
	v_add_f64 v[20:21], v[128:129], -v[104:105]
	v_fma_f64 v[30:31], s[4:5], v[20:21], v[34:35]
	v_fmac_f64_e32 v[34:35], s[2:3], v[20:21]
	v_mul_f64 v[48:49], v[30:31], s[2:3]
	v_accvgpr_write_b32 a51, v29
	v_fmac_f64_e32 v[48:49], 0.5, v[22:23]
	v_mul_f64 v[52:53], v[22:23], s[4:5]
	v_mul_f64 v[54:55], v[34:35], -0.5
	v_accvgpr_write_b32 a50, v28
	v_accvgpr_write_b32 a49, v27
	;; [unrolled: 1-line block ×3, first 2 shown]
	v_add_f64 v[20:21], v[38:39], v[48:49]
	v_mul_f64 v[50:51], v[32:33], -0.5
	v_add_f64 v[26:27], v[40:41], v[46:47]
	v_fmac_f64_e32 v[52:53], 0.5, v[30:31]
	v_fmac_f64_e32 v[54:55], s[4:5], v[32:33]
	v_add_f64 v[32:33], v[38:39], -v[48:49]
	v_add_f64 v[38:39], v[40:41], -v[46:47]
	v_add_f64 v[40:41], v[12:13], v[96:97]
	v_fmac_f64_e32 v[50:51], s[2:3], v[34:35]
	v_add_f64 v[22:23], v[42:43], v[52:53]
	v_add_f64 v[34:35], v[42:43], -v[52:53]
	v_add_f64 v[52:53], v[40:41], v[88:89]
	v_add_f64 v[40:41], v[96:97], v[88:89]
	v_fmac_f64_e32 v[12:13], -0.5, v[40:41]
	v_add_f64 v[40:41], v[142:143], -v[160:161]
	v_add_f64 v[30:31], v[18:19], v[54:55]
	v_add_f64 v[18:19], v[18:19], -v[54:55]
	v_fma_f64 v[54:55], s[2:3], v[40:41], v[12:13]
	v_fmac_f64_e32 v[12:13], s[4:5], v[40:41]
	v_add_f64 v[40:41], v[14:15], v[142:143]
	v_add_f64 v[58:59], v[40:41], v[160:161]
	v_add_f64 v[40:41], v[142:143], v[160:161]
	v_fmac_f64_e32 v[14:15], -0.5, v[40:41]
	v_add_f64 v[40:41], v[96:97], -v[88:89]
	v_fma_f64 v[62:63], s[4:5], v[40:41], v[14:15]
	v_fmac_f64_e32 v[14:15], s[2:3], v[40:41]
	v_add_f64 v[40:41], v[124:125], v[100:101]
	v_add_f64 v[56:57], v[40:41], v[84:85]
	v_add_f64 v[40:41], v[100:101], v[84:85]
	v_fmac_f64_e32 v[124:125], -0.5, v[40:41]
	;; [unrolled: 7-line block ×3, first 2 shown]
	v_add_f64 v[40:41], v[100:101], -v[84:85]
	v_add_f64 v[28:29], v[16:17], v[50:51]
	v_add_f64 v[16:17], v[16:17], -v[50:51]
	v_fma_f64 v[50:51], s[4:5], v[40:41], v[126:127]
	v_mul_f64 v[84:85], v[50:51], s[2:3]
	v_mul_f64 v[96:97], v[42:43], s[4:5]
	v_fmac_f64_e32 v[84:85], 0.5, v[42:43]
	v_fmac_f64_e32 v[96:97], 0.5, v[50:51]
	v_add_f64 v[24:25], v[36:37], v[44:45]
	v_add_f64 v[36:37], v[36:37], -v[44:45]
	v_fmac_f64_e32 v[126:127], s[2:3], v[40:41]
	v_add_f64 v[44:45], v[52:53], v[56:57]
	v_add_f64 v[40:41], v[54:55], v[84:85]
	;; [unrolled: 1-line block ×3, first 2 shown]
	v_add_f64 v[56:57], v[52:53], -v[56:57]
	v_add_f64 v[52:53], v[54:55], -v[84:85]
	;; [unrolled: 1-line block ×3, first 2 shown]
	v_add_f64 v[62:63], v[0:1], v[78:79]
	v_mul_f64 v[88:89], v[124:125], -0.5
	v_add_f64 v[84:85], v[62:63], v[70:71]
	v_add_f64 v[62:63], v[78:79], v[70:71]
	v_fmac_f64_e32 v[88:89], s[2:3], v[126:127]
	v_fmac_f64_e32 v[0:1], -0.5, v[62:63]
	v_add_f64 v[62:63], v[122:123], -v[74:75]
	v_add_f64 v[48:49], v[12:13], v[88:89]
	v_add_f64 v[12:13], v[12:13], -v[88:89]
	v_fma_f64 v[88:89], s[2:3], v[62:63], v[0:1]
	v_fmac_f64_e32 v[0:1], s[4:5], v[62:63]
	v_add_f64 v[62:63], v[2:3], v[122:123]
	v_add_f64 v[96:97], v[62:63], v[74:75]
	;; [unrolled: 1-line block ×3, first 2 shown]
	v_fmac_f64_e32 v[2:3], -0.5, v[62:63]
	v_add_f64 v[62:63], v[78:79], -v[70:71]
	v_fma_f64 v[74:75], s[4:5], v[62:63], v[2:3]
	v_fmac_f64_e32 v[2:3], s[2:3], v[62:63]
	v_add_f64 v[62:63], v[120:121], v[72:73]
	v_add_f64 v[78:79], v[62:63], v[64:65]
	;; [unrolled: 1-line block ×3, first 2 shown]
	v_mul_f64 v[100:101], v[126:127], -0.5
	v_fmac_f64_e32 v[120:121], -0.5, v[62:63]
	v_add_f64 v[62:63], v[68:69], -v[60:61]
	v_fmac_f64_e32 v[100:101], s[4:5], v[124:125]
	v_fma_f64 v[70:71], s[2:3], v[62:63], v[120:121]
	v_fmac_f64_e32 v[120:121], s[4:5], v[62:63]
	v_add_f64 v[62:63], v[76:77], v[68:69]
	v_add_f64 v[50:51], v[14:15], v[100:101]
	v_add_f64 v[14:15], v[14:15], -v[100:101]
	v_add_f64 v[100:101], v[62:63], v[60:61]
	v_add_f64 v[60:61], v[68:69], v[60:61]
	v_fmac_f64_e32 v[76:77], -0.5, v[60:61]
	v_add_f64 v[60:61], v[72:73], -v[64:65]
	v_fma_f64 v[62:63], s[4:5], v[60:61], v[76:77]
	v_fmac_f64_e32 v[76:77], s[2:3], v[60:61]
	v_mul_f64 v[104:105], v[120:121], -0.5
	v_add_f64 v[64:65], v[84:85], v[78:79]
	v_fmac_f64_e32 v[104:105], s[2:3], v[76:77]
	v_mul_f64 v[116:117], v[76:77], -0.5
	v_add_f64 v[76:77], v[84:85], -v[78:79]
	v_add_f64 v[84:85], v[4:5], v[134:135]
	v_add_f64 v[46:47], v[58:59], v[66:67]
	v_add_f64 v[58:59], v[58:59], -v[66:67]
	v_add_f64 v[66:67], v[96:97], v[100:101]
	v_add_f64 v[78:79], v[96:97], -v[100:101]
	v_add_f64 v[96:97], v[84:85], v[80:81]
	v_add_f64 v[84:85], v[134:135], v[80:81]
	v_fmac_f64_e32 v[4:5], -0.5, v[84:85]
	v_add_f64 v[84:85], v[94:95], -v[98:99]
	v_fma_f64 v[100:101], s[2:3], v[84:85], v[4:5]
	v_fmac_f64_e32 v[4:5], s[4:5], v[84:85]
	v_add_f64 v[84:85], v[6:7], v[94:95]
	v_add_f64 v[68:69], v[0:1], v[104:105]
	v_add_f64 v[0:1], v[0:1], -v[104:105]
	v_add_f64 v[104:105], v[84:85], v[98:99]
	v_add_f64 v[84:85], v[94:95], v[98:99]
	v_fmac_f64_e32 v[6:7], -0.5, v[84:85]
	v_add_f64 v[80:81], v[134:135], -v[80:81]
	v_fma_f64 v[94:95], s[4:5], v[80:81], v[6:7]
	v_fmac_f64_e32 v[6:7], s[2:3], v[80:81]
	v_add_f64 v[80:81], v[90:91], v[148:149]
	v_mul_f64 v[108:109], v[70:71], s[4:5]
	v_add_f64 v[98:99], v[80:81], v[144:145]
	v_add_f64 v[80:81], v[148:149], v[144:145]
	v_fmac_f64_e32 v[108:109], 0.5, v[62:63]
	v_fmac_f64_e32 v[90:91], -0.5, v[80:81]
	v_add_f64 v[80:81], v[82:83], -v[86:87]
	v_mul_f64 v[72:73], v[62:63], s[2:3]
	v_add_f64 v[62:63], v[74:75], v[108:109]
	v_fmac_f64_e32 v[116:117], s[4:5], v[120:121]
	v_add_f64 v[74:75], v[74:75], -v[108:109]
	v_fma_f64 v[108:109], s[2:3], v[80:81], v[90:91]
	v_fmac_f64_e32 v[90:91], s[4:5], v[80:81]
	v_add_f64 v[80:81], v[92:93], v[82:83]
	v_fmac_f64_e32 v[72:73], 0.5, v[70:71]
	v_add_f64 v[70:71], v[2:3], v[116:117]
	v_add_f64 v[2:3], v[2:3], -v[116:117]
	v_add_f64 v[116:117], v[80:81], v[86:87]
	v_add_f64 v[80:81], v[82:83], v[86:87]
	v_fmac_f64_e32 v[92:93], -0.5, v[80:81]
	v_add_f64 v[80:81], v[148:149], -v[144:145]
	v_fma_f64 v[82:83], s[4:5], v[80:81], v[92:93]
	v_mul_f64 v[120:121], v[82:83], s[2:3]
	v_fmac_f64_e32 v[92:93], s[2:3], v[80:81]
	v_fmac_f64_e32 v[120:121], 0.5, v[108:109]
	v_mul_f64 v[122:123], v[90:91], -0.5
	v_add_f64 v[80:81], v[100:101], v[120:121]
	v_fmac_f64_e32 v[122:123], s[2:3], v[92:93]
	v_mul_f64 v[124:125], v[92:93], -0.5
	v_add_f64 v[92:93], v[100:101], -v[120:121]
	v_add_f64 v[100:101], v[8:9], v[152:153]
	v_add_f64 v[84:85], v[96:97], v[98:99]
	;; [unrolled: 1-line block ×3, first 2 shown]
	v_add_f64 v[96:97], v[96:97], -v[98:99]
	v_add_f64 v[98:99], v[104:105], -v[116:117]
	v_add_f64 v[116:117], v[100:101], v[138:139]
	v_add_f64 v[100:101], v[152:153], v[138:139]
	v_fmac_f64_e32 v[8:9], -0.5, v[100:101]
	v_add_f64 v[100:101], v[114:115], -v[118:119]
	v_fma_f64 v[120:121], s[2:3], v[100:101], v[8:9]
	v_fmac_f64_e32 v[8:9], s[4:5], v[100:101]
	v_add_f64 v[100:101], v[10:11], v[114:115]
	v_add_f64 v[60:61], v[88:89], v[72:73]
	v_add_f64 v[72:73], v[88:89], -v[72:73]
	v_add_f64 v[88:89], v[4:5], v[122:123]
	v_add_f64 v[4:5], v[4:5], -v[122:123]
	v_add_f64 v[122:123], v[100:101], v[118:119]
	v_add_f64 v[100:101], v[114:115], v[118:119]
	v_fmac_f64_e32 v[10:11], -0.5, v[100:101]
	v_add_f64 v[100:101], v[152:153], -v[138:139]
	v_fma_f64 v[114:115], s[4:5], v[100:101], v[10:11]
	v_fmac_f64_e32 v[10:11], s[2:3], v[100:101]
	v_add_f64 v[100:101], v[110:111], v[156:157]
	v_add_f64 v[118:119], v[100:101], v[140:141]
	;; [unrolled: 1-line block ×3, first 2 shown]
	v_fmac_f64_e32 v[124:125], s[4:5], v[90:91]
	v_fmac_f64_e32 v[110:111], -0.5, v[100:101]
	v_add_f64 v[100:101], v[102:103], -v[106:107]
	v_add_f64 v[90:91], v[6:7], v[124:125]
	v_add_f64 v[6:7], v[6:7], -v[124:125]
	v_fma_f64 v[124:125], s[2:3], v[100:101], v[110:111]
	v_fmac_f64_e32 v[110:111], s[4:5], v[100:101]
	v_add_f64 v[100:101], v[112:113], v[102:103]
	v_add_f64 v[126:127], v[100:101], v[106:107]
	;; [unrolled: 1-line block ×3, first 2 shown]
	v_fmac_f64_e32 v[112:113], -0.5, v[100:101]
	v_add_f64 v[100:101], v[156:157], -v[140:141]
	v_fma_f64 v[102:103], s[4:5], v[100:101], v[112:113]
	v_fmac_f64_e32 v[112:113], s[2:3], v[100:101]
	v_mul_f64 v[128:129], v[102:103], s[2:3]
	v_mul_f64 v[108:109], v[108:109], s[4:5]
	v_fmac_f64_e32 v[128:129], 0.5, v[124:125]
	v_mul_f64 v[130:131], v[110:111], -0.5
	v_mul_f64 v[124:125], v[124:125], s[4:5]
	v_mul_f64 v[134:135], v[112:113], -0.5
	v_fmac_f64_e32 v[108:109], 0.5, v[82:83]
	v_fmac_f64_e32 v[130:131], s[2:3], v[112:113]
	v_fmac_f64_e32 v[124:125], 0.5, v[102:103]
	v_fmac_f64_e32 v[134:135], s[4:5], v[110:111]
	v_add_f64 v[82:83], v[94:95], v[108:109]
	v_add_f64 v[94:95], v[94:95], -v[108:109]
	v_add_f64 v[104:105], v[116:117], v[118:119]
	v_add_f64 v[100:101], v[120:121], v[128:129]
	;; [unrolled: 1-line block ×6, first 2 shown]
	v_add_f64 v[116:117], v[116:117], -v[118:119]
	v_add_f64 v[112:113], v[120:121], -v[128:129]
	;; [unrolled: 1-line block ×6, first 2 shown]
	ds_write_b128 v252, v[24:27]
	ds_write_b128 v252, v[20:23] offset:8640
	ds_write_b128 v252, v[28:31] offset:17280
	;; [unrolled: 1-line block ×29, first 2 shown]
	v_accvgpr_read_b32 v4, a148
	v_accvgpr_read_b32 v5, a149
	s_waitcnt lgkmcnt(0)
	s_barrier
	global_load_dwordx4 v[4:7], v[4:5], off offset:2688
	ds_read_b128 v[0:3], v252
	v_lshl_add_u64 v[14:15], v[132:133], 0, s[6:7]
	s_mov_b32 s6, 0x10000
	s_waitcnt vmcnt(0) lgkmcnt(0)
	v_mul_f64 v[8:9], v[2:3], v[6:7]
	v_fma_f64 v[8:9], v[0:1], v[4:5], -v[8:9]
	v_mul_f64 v[10:11], v[0:1], v[6:7]
	v_add_co_u32_e32 v0, vcc, s6, v132
	v_fmac_f64_e32 v[10:11], v[2:3], v[4:5]
	s_nop 0
	v_addc_co_u32_e32 v1, vcc, 0, v133, vcc
	ds_write_b128 v252, v[8:11]
	global_load_dwordx4 v[6:9], v[0:1], off offset:3584
	ds_read_b128 v[2:5], v252 offset:17280
	s_mov_b32 s6, 0x15000
	v_add_co_u32_e32 v16, vcc, s6, v132
	s_mov_b32 s6, 0x11000
	s_nop 0
	v_addc_co_u32_e32 v17, vcc, 0, v133, vcc
	v_add_co_u32_e32 v18, vcc, s6, v132
	s_mov_b32 s6, 0xd000
	s_nop 0
	v_addc_co_u32_e32 v19, vcc, 0, v133, vcc
	s_waitcnt vmcnt(0) lgkmcnt(0)
	v_mul_f64 v[10:11], v[4:5], v[8:9]
	v_mul_f64 v[12:13], v[2:3], v[8:9]
	v_fma_f64 v[10:11], v[2:3], v[6:7], -v[10:11]
	v_fmac_f64_e32 v[12:13], v[4:5], v[6:7]
	global_load_dwordx4 v[6:9], v[16:17], off offset:384
	ds_read_b128 v[2:5], v252 offset:34560
	ds_write_b128 v252, v[10:13] offset:17280
	s_waitcnt vmcnt(0) lgkmcnt(1)
	v_mul_f64 v[10:11], v[4:5], v[8:9]
	v_mul_f64 v[12:13], v[2:3], v[8:9]
	v_fma_f64 v[10:11], v[2:3], v[6:7], -v[10:11]
	v_fmac_f64_e32 v[12:13], v[4:5], v[6:7]
	global_load_dwordx4 v[6:9], v[14:15], off offset:1728
	ds_read_b128 v[2:5], v252 offset:1728
	ds_write_b128 v252, v[10:13] offset:34560
	;; [unrolled: 8-line block ×7, first 2 shown]
	s_waitcnt vmcnt(0) lgkmcnt(1)
	v_mul_f64 v[10:11], v[4:5], v[8:9]
	v_mul_f64 v[12:13], v[2:3], v[8:9]
	v_fma_f64 v[10:11], v[2:3], v[6:7], -v[10:11]
	v_fmac_f64_e32 v[12:13], v[4:5], v[6:7]
	v_add_co_u32_e32 v6, vcc, s6, v132
	ds_read_b128 v[2:5], v252 offset:5184
	s_nop 0
	v_addc_co_u32_e32 v7, vcc, 0, v133, vcc
	global_load_dwordx4 v[6:9], v[6:7], off offset:3776
	s_mov_b32 s6, 0x12000
	v_add_co_u32_e32 v14, vcc, s6, v132
	ds_write_b128 v252, v[10:13] offset:38016
	s_nop 0
	v_addc_co_u32_e32 v15, vcc, 0, v133, vcc
	s_mov_b32 s6, 0x16000
	v_add_co_u32_e32 v16, vcc, s6, v132
	s_mov_b32 s6, 0xe000
	s_nop 0
	v_addc_co_u32_e32 v17, vcc, 0, v133, vcc
	v_add_co_u32_e32 v18, vcc, s6, v132
	s_mov_b32 s6, 0x17000
	s_nop 0
	v_addc_co_u32_e32 v19, vcc, 0, v133, vcc
	s_waitcnt vmcnt(0) lgkmcnt(1)
	v_mul_f64 v[10:11], v[4:5], v[8:9]
	v_mul_f64 v[12:13], v[2:3], v[8:9]
	v_fma_f64 v[10:11], v[2:3], v[6:7], -v[10:11]
	v_fmac_f64_e32 v[12:13], v[4:5], v[6:7]
	global_load_dwordx4 v[6:9], v[14:15], off offset:576
	ds_read_b128 v[2:5], v252 offset:22464
	ds_write_b128 v252, v[10:13] offset:5184
	s_waitcnt vmcnt(0) lgkmcnt(1)
	v_mul_f64 v[10:11], v[4:5], v[8:9]
	v_mul_f64 v[12:13], v[2:3], v[8:9]
	v_fma_f64 v[10:11], v[2:3], v[6:7], -v[10:11]
	v_fmac_f64_e32 v[12:13], v[4:5], v[6:7]
	global_load_dwordx4 v[6:9], v[16:17], off offset:1472
	ds_read_b128 v[2:5], v252 offset:39744
	ds_write_b128 v252, v[10:13] offset:22464
	;; [unrolled: 8-line block ×6, first 2 shown]
	s_waitcnt vmcnt(0) lgkmcnt(1)
	v_mul_f64 v[10:11], v[4:5], v[8:9]
	v_mul_f64 v[12:13], v[2:3], v[8:9]
	v_fma_f64 v[10:11], v[2:3], v[6:7], -v[10:11]
	v_fmac_f64_e32 v[12:13], v[4:5], v[6:7]
	global_load_dwordx4 v[6:9], v[14:15], off offset:4032
	ds_read_b128 v[2:5], v252 offset:25920
	v_add_co_u32_e32 v14, vcc, s6, v132
	ds_write_b128 v252, v[10:13] offset:8640
	s_nop 0
	v_addc_co_u32_e32 v15, vcc, 0, v133, vcc
	s_mov_b32 s6, 0xf000
	v_add_co_u32_e32 v16, vcc, s6, v132
	s_mov_b32 s6, 0x13000
	s_nop 0
	v_addc_co_u32_e32 v17, vcc, 0, v133, vcc
	v_add_co_u32_e32 v18, vcc, s6, v132
	s_mov_b32 s6, 0x18000
	s_nop 0
	v_addc_co_u32_e32 v19, vcc, 0, v133, vcc
	s_waitcnt vmcnt(0) lgkmcnt(1)
	v_mul_f64 v[10:11], v[4:5], v[8:9]
	v_mul_f64 v[12:13], v[2:3], v[8:9]
	v_fma_f64 v[10:11], v[2:3], v[6:7], -v[10:11]
	v_fmac_f64_e32 v[12:13], v[4:5], v[6:7]
	global_load_dwordx4 v[6:9], v[14:15], off offset:832
	ds_read_b128 v[2:5], v252 offset:43200
	ds_write_b128 v252, v[10:13] offset:25920
	s_waitcnt vmcnt(0) lgkmcnt(1)
	v_mul_f64 v[10:11], v[4:5], v[8:9]
	v_mul_f64 v[12:13], v[2:3], v[8:9]
	v_fma_f64 v[10:11], v[2:3], v[6:7], -v[10:11]
	v_fmac_f64_e32 v[12:13], v[4:5], v[6:7]
	global_load_dwordx4 v[6:9], v[16:17], off offset:768
	ds_read_b128 v[2:5], v252 offset:10368
	ds_write_b128 v252, v[10:13] offset:43200
	;; [unrolled: 8-line block ×6, first 2 shown]
	s_waitcnt vmcnt(0) lgkmcnt(1)
	v_mul_f64 v[12:13], v[2:3], v[8:9]
	v_mul_f64 v[10:11], v[4:5], v[8:9]
	v_fmac_f64_e32 v[12:13], v[4:5], v[6:7]
	v_add_co_u32_e32 v4, vcc, s6, v132
	v_fma_f64 v[10:11], v[2:3], v[6:7], -v[10:11]
	s_nop 0
	v_addc_co_u32_e32 v5, vcc, 0, v133, vcc
	ds_write_b128 v252, v[10:13] offset:29376
	global_load_dwordx4 v[10:13], v[4:5], off offset:192
	ds_read_b128 v[6:9], v252 offset:46656
	s_mov_b32 s6, 0x14000
	v_add_co_u32_e32 v18, vcc, s6, v132
	s_waitcnt vmcnt(0) lgkmcnt(0)
	v_mul_f64 v[2:3], v[8:9], v[12:13]
	v_mul_f64 v[16:17], v[6:7], v[12:13]
	v_fma_f64 v[14:15], v[6:7], v[10:11], -v[2:3]
	v_fmac_f64_e32 v[16:17], v[8:9], v[10:11]
	global_load_dwordx4 v[10:13], v[0:1], off offset:128
	ds_read_b128 v[6:9], v252 offset:13824
	ds_write_b128 v252, v[14:17] offset:46656
	v_addc_co_u32_e32 v19, vcc, 0, v133, vcc
	s_waitcnt vmcnt(0) lgkmcnt(1)
	v_mul_f64 v[2:3], v[8:9], v[12:13]
	v_mul_f64 v[16:17], v[6:7], v[12:13]
	v_fma_f64 v[14:15], v[6:7], v[10:11], -v[2:3]
	v_fmac_f64_e32 v[16:17], v[8:9], v[10:11]
	global_load_dwordx4 v[10:13], v[18:19], off offset:1024
	ds_read_b128 v[6:9], v252 offset:31104
	ds_write_b128 v252, v[14:17] offset:13824
	s_waitcnt vmcnt(0) lgkmcnt(1)
	v_mul_f64 v[2:3], v[8:9], v[12:13]
	v_mul_f64 v[16:17], v[6:7], v[12:13]
	v_fma_f64 v[14:15], v[6:7], v[10:11], -v[2:3]
	v_fmac_f64_e32 v[16:17], v[8:9], v[10:11]
	global_load_dwordx4 v[10:13], v[4:5], off offset:1920
	ds_read_b128 v[6:9], v252 offset:48384
	ds_write_b128 v252, v[14:17] offset:31104
	s_waitcnt vmcnt(0) lgkmcnt(1)
	v_mul_f64 v[2:3], v[8:9], v[12:13]
	v_fma_f64 v[14:15], v[6:7], v[10:11], -v[2:3]
	global_load_dwordx4 v[0:3], v[0:1], off offset:1856
	v_mul_f64 v[16:17], v[6:7], v[12:13]
	v_fmac_f64_e32 v[16:17], v[8:9], v[10:11]
	ds_read_b128 v[6:9], v252 offset:15552
	ds_write_b128 v252, v[14:17] offset:48384
	s_waitcnt vmcnt(0) lgkmcnt(1)
	v_mul_f64 v[10:11], v[8:9], v[2:3]
	v_mul_f64 v[12:13], v[6:7], v[2:3]
	v_fma_f64 v[10:11], v[6:7], v[0:1], -v[10:11]
	v_fmac_f64_e32 v[12:13], v[8:9], v[0:1]
	global_load_dwordx4 v[6:9], v[18:19], off offset:2752
	ds_read_b128 v[0:3], v252 offset:32832
	ds_write_b128 v252, v[10:13] offset:15552
	s_waitcnt vmcnt(0) lgkmcnt(1)
	v_mul_f64 v[10:11], v[2:3], v[8:9]
	v_mul_f64 v[12:13], v[0:1], v[8:9]
	v_fma_f64 v[10:11], v[0:1], v[6:7], -v[10:11]
	v_fmac_f64_e32 v[12:13], v[2:3], v[6:7]
	global_load_dwordx4 v[4:7], v[4:5], off offset:3648
	ds_read_b128 v[0:3], v252 offset:50112
	ds_write_b128 v252, v[10:13] offset:32832
	s_waitcnt vmcnt(0) lgkmcnt(1)
	v_mul_f64 v[8:9], v[2:3], v[6:7]
	v_mul_f64 v[10:11], v[0:1], v[6:7]
	v_fma_f64 v[8:9], v[0:1], v[4:5], -v[8:9]
	v_fmac_f64_e32 v[10:11], v[2:3], v[4:5]
	ds_write_b128 v252, v[8:11] offset:50112
	s_waitcnt lgkmcnt(0)
	s_barrier
	ds_read_b128 v[36:39], v252
	ds_read_b128 v[96:99], v252 offset:17280
	ds_read_b128 v[100:103], v252 offset:34560
	;; [unrolled: 1-line block ×29, first 2 shown]
	s_waitcnt lgkmcnt(14)
	v_add_f64 v[122:123], v[96:97], v[100:101]
	v_add_f64 v[120:121], v[36:37], v[96:97]
	v_fmac_f64_e32 v[36:37], -0.5, v[122:123]
	v_add_f64 v[122:123], v[98:99], -v[102:103]
	v_fma_f64 v[124:125], s[4:5], v[122:123], v[36:37]
	v_fmac_f64_e32 v[36:37], s[2:3], v[122:123]
	v_add_f64 v[122:123], v[38:39], v[98:99]
	v_add_f64 v[98:99], v[98:99], v[102:103]
	v_fmac_f64_e32 v[38:39], -0.5, v[98:99]
	v_add_f64 v[96:97], v[96:97], -v[100:101]
	v_fma_f64 v[126:127], s[2:3], v[96:97], v[38:39]
	v_fmac_f64_e32 v[38:39], s[4:5], v[96:97]
	v_add_f64 v[96:97], v[32:33], v[104:105]
	v_add_f64 v[120:121], v[120:121], v[100:101]
	v_add_f64 v[100:101], v[96:97], v[108:109]
	v_add_f64 v[96:97], v[104:105], v[108:109]
	v_fmac_f64_e32 v[32:33], -0.5, v[96:97]
	v_add_f64 v[98:99], v[106:107], -v[110:111]
	v_fma_f64 v[96:97], s[4:5], v[98:99], v[32:33]
	v_fmac_f64_e32 v[32:33], s[2:3], v[98:99]
	v_add_f64 v[98:99], v[34:35], v[106:107]
	v_add_f64 v[122:123], v[122:123], v[102:103]
	;; [unrolled: 8-line block ×3, first 2 shown]
	v_add_f64 v[104:105], v[80:81], v[84:85]
	v_fmac_f64_e32 v[28:29], -0.5, v[104:105]
	v_add_f64 v[106:107], v[82:83], -v[86:87]
	v_fma_f64 v[104:105], s[4:5], v[106:107], v[28:29]
	v_fmac_f64_e32 v[28:29], s[2:3], v[106:107]
	v_add_f64 v[106:107], v[30:31], v[82:83]
	v_add_f64 v[82:83], v[82:83], v[86:87]
	v_fmac_f64_e32 v[30:31], -0.5, v[82:83]
	v_add_f64 v[80:81], v[80:81], -v[84:85]
	v_add_f64 v[82:83], v[112:113], v[116:117]
	v_add_f64 v[110:111], v[106:107], v[86:87]
	v_fma_f64 v[106:107], s[2:3], v[80:81], v[30:31]
	v_fmac_f64_e32 v[30:31], s[4:5], v[80:81]
	v_add_f64 v[80:81], v[24:25], v[112:113]
	v_fmac_f64_e32 v[24:25], -0.5, v[82:83]
	v_add_f64 v[82:83], v[114:115], -v[118:119]
	v_add_f64 v[86:87], v[114:115], v[118:119]
	v_fma_f64 v[84:85], s[4:5], v[82:83], v[24:25]
	v_fmac_f64_e32 v[24:25], s[2:3], v[82:83]
	v_add_f64 v[82:83], v[26:27], v[114:115]
	v_fmac_f64_e32 v[26:27], -0.5, v[86:87]
	v_add_f64 v[112:113], v[112:113], -v[116:117]
	v_fma_f64 v[86:87], s[2:3], v[112:113], v[26:27]
	v_fmac_f64_e32 v[26:27], s[4:5], v[112:113]
	v_add_f64 v[112:113], v[20:21], v[88:89]
	v_add_f64 v[80:81], v[80:81], v[116:117]
	;; [unrolled: 1-line block ×4, first 2 shown]
	v_fmac_f64_e32 v[20:21], -0.5, v[112:113]
	v_add_f64 v[114:115], v[90:91], -v[94:95]
	v_fma_f64 v[112:113], s[4:5], v[114:115], v[20:21]
	v_fmac_f64_e32 v[20:21], s[2:3], v[114:115]
	v_add_f64 v[114:115], v[22:23], v[90:91]
	v_add_f64 v[90:91], v[90:91], v[94:95]
	v_fmac_f64_e32 v[22:23], -0.5, v[90:91]
	v_add_f64 v[88:89], v[88:89], -v[92:93]
	v_add_f64 v[82:83], v[82:83], v[118:119]
	v_add_f64 v[118:119], v[114:115], v[94:95]
	v_fma_f64 v[114:115], s[2:3], v[88:89], v[22:23]
	v_fmac_f64_e32 v[22:23], s[4:5], v[88:89]
	s_waitcnt lgkmcnt(13)
	v_add_f64 v[88:89], v[16:17], v[72:73]
	s_waitcnt lgkmcnt(12)
	v_add_f64 v[92:93], v[88:89], v[76:77]
	v_add_f64 v[88:89], v[72:73], v[76:77]
	v_fmac_f64_e32 v[16:17], -0.5, v[88:89]
	v_add_f64 v[90:91], v[74:75], -v[78:79]
	v_fma_f64 v[88:89], s[4:5], v[90:91], v[16:17]
	v_fmac_f64_e32 v[16:17], s[2:3], v[90:91]
	v_add_f64 v[90:91], v[18:19], v[74:75]
	v_add_f64 v[74:75], v[74:75], v[78:79]
	v_fmac_f64_e32 v[18:19], -0.5, v[74:75]
	v_add_f64 v[72:73], v[72:73], -v[76:77]
	v_add_f64 v[94:95], v[90:91], v[78:79]
	v_fma_f64 v[90:91], s[2:3], v[72:73], v[18:19]
	v_fmac_f64_e32 v[18:19], s[4:5], v[72:73]
	s_waitcnt lgkmcnt(10)
	v_add_f64 v[72:73], v[12:13], v[64:65]
	s_waitcnt lgkmcnt(9)
	v_add_f64 v[76:77], v[72:73], v[68:69]
	v_add_f64 v[72:73], v[64:65], v[68:69]
	v_fmac_f64_e32 v[12:13], -0.5, v[72:73]
	v_add_f64 v[74:75], v[66:67], -v[70:71]
	v_fma_f64 v[72:73], s[4:5], v[74:75], v[12:13]
	v_fmac_f64_e32 v[12:13], s[2:3], v[74:75]
	v_add_f64 v[74:75], v[14:15], v[66:67]
	v_add_f64 v[66:67], v[66:67], v[70:71]
	v_fmac_f64_e32 v[14:15], -0.5, v[66:67]
	v_add_f64 v[64:65], v[64:65], -v[68:69]
	;; [unrolled: 16-line block ×5, first 2 shown]
	v_add_f64 v[54:55], v[50:51], v[46:47]
	v_fma_f64 v[50:51], s[2:3], v[40:41], v[2:3]
	v_fmac_f64_e32 v[2:3], s[4:5], v[40:41]
	s_barrier
	scratch_load_dword v40, off, off        ; 4-byte Folded Reload
	s_waitcnt vmcnt(0)
	ds_write_b128 v40, v[120:123]
	ds_write_b128 v40, v[124:127] offset:16
	ds_write_b128 v40, v[36:39] offset:32
	scratch_load_dword v36, off, off offset:16 ; 4-byte Folded Reload
	s_waitcnt vmcnt(0)
	ds_write_b128 v36, v[100:103]
	ds_write_b128 v36, v[96:99] offset:16
	ds_write_b128 v36, v[32:35] offset:32
	scratch_load_dword v32, off, off offset:36 ; 4-byte Folded Reload
	;; [unrolled: 5-line block ×9, first 2 shown]
	s_waitcnt vmcnt(0)
	ds_write_b128 v4, v[52:55]
	ds_write_b128 v4, v[48:51] offset:16
	ds_write_b128 v4, v[0:3] offset:32
	s_waitcnt lgkmcnt(0)
	s_barrier
	ds_read_b128 v[36:39], v252
	ds_read_b128 v[116:119], v252 offset:17280
	ds_read_b128 v[112:115], v252 offset:34560
	ds_read_b128 v[0:3], v252 offset:1728
	ds_read_b128 v[108:111], v252 offset:19008
	ds_read_b128 v[104:107], v252 offset:36288
	ds_read_b128 v[28:31], v252 offset:3456
	ds_read_b128 v[100:103], v252 offset:20736
	ds_read_b128 v[96:99], v252 offset:38016
	ds_read_b128 v[4:7], v252 offset:5184
	ds_read_b128 v[92:95], v252 offset:22464
	ds_read_b128 v[88:91], v252 offset:39744
	ds_read_b128 v[8:11], v252 offset:6912
	ds_read_b128 v[84:87], v252 offset:24192
	ds_read_b128 v[80:83], v252 offset:41472
	ds_read_b128 v[12:15], v252 offset:8640
	ds_read_b128 v[76:79], v252 offset:25920
	ds_read_b128 v[72:75], v252 offset:43200
	ds_read_b128 v[16:19], v252 offset:10368
	ds_read_b128 v[68:71], v252 offset:27648
	ds_read_b128 v[64:67], v252 offset:44928
	ds_read_b128 v[20:23], v252 offset:12096
	ds_read_b128 v[56:59], v252 offset:29376
	ds_read_b128 v[48:51], v252 offset:46656
	ds_read_b128 v[24:27], v252 offset:13824
	ds_read_b128 v[44:47], v252 offset:31104
	ds_read_b128 v[40:43], v252 offset:48384
	ds_read_b128 v[32:35], v252 offset:15552
	ds_read_b128 v[60:63], v252 offset:32832
	ds_read_b128 v[52:55], v252 offset:50112
	scratch_load_dwordx4 v[122:125], off, off offset:588 ; 16-byte Folded Reload
	s_waitcnt vmcnt(0) lgkmcnt(14)
	v_mul_f64 v[120:121], v[124:125], v[118:119]
	v_fmac_f64_e32 v[120:121], v[122:123], v[116:117]
	v_mul_f64 v[116:117], v[124:125], v[116:117]
	v_fma_f64 v[116:117], v[122:123], v[118:119], -v[116:117]
	scratch_load_dwordx4 v[122:125], off, off offset:560 ; 16-byte Folded Reload
	s_waitcnt vmcnt(0)
	v_mul_f64 v[118:119], v[124:125], v[114:115]
	v_fmac_f64_e32 v[118:119], v[122:123], v[112:113]
	v_mul_f64 v[112:113], v[124:125], v[112:113]
	v_fma_f64 v[112:113], v[122:123], v[114:115], -v[112:113]
	scratch_load_dwordx4 v[122:125], off, off offset:620 ; 16-byte Folded Reload
	s_waitcnt vmcnt(0)
	v_mul_f64 v[114:115], v[124:125], v[110:111]
	v_fmac_f64_e32 v[114:115], v[122:123], v[108:109]
	v_mul_f64 v[108:109], v[124:125], v[108:109]
	v_fma_f64 v[108:109], v[122:123], v[110:111], -v[108:109]
	scratch_load_dwordx4 v[122:125], off, off offset:604 ; 16-byte Folded Reload
	s_waitcnt vmcnt(0)
	v_mul_f64 v[110:111], v[124:125], v[106:107]
	v_fmac_f64_e32 v[110:111], v[122:123], v[104:105]
	v_mul_f64 v[104:105], v[124:125], v[104:105]
	v_fma_f64 v[104:105], v[122:123], v[106:107], -v[104:105]
	scratch_load_dwordx4 v[122:125], off, off offset:652 ; 16-byte Folded Reload
	s_waitcnt vmcnt(0)
	v_mul_f64 v[106:107], v[124:125], v[102:103]
	v_fmac_f64_e32 v[106:107], v[122:123], v[100:101]
	v_mul_f64 v[100:101], v[124:125], v[100:101]
	v_fma_f64 v[100:101], v[122:123], v[102:103], -v[100:101]
	scratch_load_dwordx4 v[122:125], off, off offset:636 ; 16-byte Folded Reload
	s_waitcnt vmcnt(0)
	v_mul_f64 v[102:103], v[124:125], v[98:99]
	v_fmac_f64_e32 v[102:103], v[122:123], v[96:97]
	v_mul_f64 v[96:97], v[124:125], v[96:97]
	v_fma_f64 v[96:97], v[122:123], v[98:99], -v[96:97]
	scratch_load_dwordx4 v[122:125], off, off offset:684 ; 16-byte Folded Reload
	s_waitcnt vmcnt(0)
	v_mul_f64 v[98:99], v[124:125], v[94:95]
	v_fmac_f64_e32 v[98:99], v[122:123], v[92:93]
	v_mul_f64 v[92:93], v[124:125], v[92:93]
	v_fma_f64 v[92:93], v[122:123], v[94:95], -v[92:93]
	scratch_load_dwordx4 v[122:125], off, off offset:668 ; 16-byte Folded Reload
	s_waitcnt vmcnt(0)
	v_mul_f64 v[94:95], v[124:125], v[90:91]
	v_fmac_f64_e32 v[94:95], v[122:123], v[88:89]
	v_mul_f64 v[88:89], v[124:125], v[88:89]
	v_fma_f64 v[88:89], v[122:123], v[90:91], -v[88:89]
	scratch_load_dwordx4 v[122:125], off, off offset:700 ; 16-byte Folded Reload
	s_waitcnt vmcnt(0)
	v_mul_f64 v[90:91], v[124:125], v[86:87]
	v_fmac_f64_e32 v[90:91], v[122:123], v[84:85]
	v_mul_f64 v[84:85], v[124:125], v[84:85]
	v_fma_f64 v[84:85], v[122:123], v[86:87], -v[84:85]
	scratch_load_dwordx4 v[122:125], off, off offset:716 ; 16-byte Folded Reload
	s_waitcnt vmcnt(0)
	v_mul_f64 v[86:87], v[124:125], v[82:83]
	v_fmac_f64_e32 v[86:87], v[122:123], v[80:81]
	v_mul_f64 v[80:81], v[124:125], v[80:81]
	scratch_load_dwordx4 v[124:127], off, off offset:732 ; 16-byte Folded Reload
	v_fma_f64 v[82:83], v[122:123], v[82:83], -v[80:81]
	s_waitcnt vmcnt(0) lgkmcnt(13)
	v_mul_f64 v[122:123], v[126:127], v[78:79]
	v_fmac_f64_e32 v[122:123], v[124:125], v[76:77]
	v_mul_f64 v[76:77], v[126:127], v[76:77]
	v_fma_f64 v[124:125], v[124:125], v[78:79], -v[76:77]
	scratch_load_dwordx4 v[76:79], off, off offset:748 ; 16-byte Folded Reload
	s_waitcnt vmcnt(0) lgkmcnt(12)
	v_mul_f64 v[126:127], v[78:79], v[74:75]
	v_fmac_f64_e32 v[126:127], v[76:77], v[72:73]
	v_mul_f64 v[72:73], v[78:79], v[72:73]
	v_fma_f64 v[128:129], v[76:77], v[74:75], -v[72:73]
	scratch_load_dwordx4 v[72:75], off, off offset:764 ; 16-byte Folded Reload
	v_add_f64 v[76:77], v[84:85], v[82:83]
	v_add_f64 v[78:79], v[122:123], v[126:127]
	s_waitcnt lgkmcnt(0)
	s_barrier
	s_waitcnt vmcnt(0)
	v_mul_f64 v[130:131], v[74:75], v[70:71]
	v_fmac_f64_e32 v[130:131], v[72:73], v[68:69]
	v_mul_f64 v[68:69], v[74:75], v[68:69]
	v_fma_f64 v[132:133], v[72:73], v[70:71], -v[68:69]
	v_accvgpr_read_b32 v68, a220
	v_accvgpr_read_b32 v70, a222
	v_accvgpr_read_b32 v71, a223
	v_accvgpr_read_b32 v69, a221
	v_mul_f64 v[134:135], v[70:71], v[66:67]
	v_fmac_f64_e32 v[134:135], v[68:69], v[64:65]
	v_mul_f64 v[64:65], v[70:71], v[64:65]
	v_fma_f64 v[136:137], v[68:69], v[66:67], -v[64:65]
	v_accvgpr_read_b32 v64, a216
	v_accvgpr_read_b32 v66, a218
	v_accvgpr_read_b32 v67, a219
	v_accvgpr_read_b32 v65, a217
	v_mul_f64 v[138:139], v[66:67], v[58:59]
	v_fmac_f64_e32 v[138:139], v[64:65], v[56:57]
	v_mul_f64 v[56:57], v[66:67], v[56:57]
	v_fma_f64 v[140:141], v[64:65], v[58:59], -v[56:57]
	v_accvgpr_read_b32 v56, a194
	v_accvgpr_read_b32 v58, a196
	v_accvgpr_read_b32 v59, a197
	v_accvgpr_read_b32 v57, a195
	v_mul_f64 v[142:143], v[58:59], v[50:51]
	v_fmac_f64_e32 v[142:143], v[56:57], v[48:49]
	v_mul_f64 v[48:49], v[58:59], v[48:49]
	v_fma_f64 v[144:145], v[56:57], v[50:51], -v[48:49]
	v_accvgpr_read_b32 v48, a198
	v_accvgpr_read_b32 v50, a200
	v_accvgpr_read_b32 v51, a201
	v_accvgpr_read_b32 v49, a199
	v_mul_f64 v[146:147], v[50:51], v[46:47]
	v_fmac_f64_e32 v[146:147], v[48:49], v[44:45]
	v_mul_f64 v[44:45], v[50:51], v[44:45]
	v_fma_f64 v[148:149], v[48:49], v[46:47], -v[44:45]
	v_accvgpr_read_b32 v44, a202
	v_accvgpr_read_b32 v46, a204
	v_accvgpr_read_b32 v47, a205
	v_accvgpr_read_b32 v45, a203
	v_mul_f64 v[150:151], v[46:47], v[42:43]
	v_fmac_f64_e32 v[150:151], v[44:45], v[40:41]
	v_mul_f64 v[40:41], v[46:47], v[40:41]
	v_fma_f64 v[152:153], v[44:45], v[42:43], -v[40:41]
	v_accvgpr_read_b32 v42, a208
	v_accvgpr_read_b32 v44, a210
	v_accvgpr_read_b32 v45, a211
	v_accvgpr_read_b32 v43, a209
	v_mul_f64 v[154:155], v[44:45], v[62:63]
	v_mul_f64 v[40:41], v[44:45], v[60:61]
	v_fmac_f64_e32 v[154:155], v[42:43], v[60:61]
	v_fma_f64 v[156:157], v[42:43], v[62:63], -v[40:41]
	v_accvgpr_read_b32 v42, a212
	v_accvgpr_read_b32 v44, a214
	v_accvgpr_read_b32 v45, a215
	v_accvgpr_read_b32 v43, a213
	v_mul_f64 v[158:159], v[44:45], v[54:55]
	v_mul_f64 v[40:41], v[44:45], v[52:53]
	v_fmac_f64_e32 v[158:159], v[42:43], v[52:53]
	v_fma_f64 v[160:161], v[42:43], v[54:55], -v[40:41]
	v_add_f64 v[42:43], v[120:121], v[118:119]
	v_add_f64 v[40:41], v[36:37], v[120:121]
	v_fmac_f64_e32 v[36:37], -0.5, v[42:43]
	v_add_f64 v[42:43], v[116:117], -v[112:113]
	v_add_f64 v[44:45], v[116:117], v[112:113]
	v_fma_f64 v[48:49], s[4:5], v[42:43], v[36:37]
	v_fmac_f64_e32 v[36:37], s[2:3], v[42:43]
	v_add_f64 v[42:43], v[38:39], v[116:117]
	v_fmac_f64_e32 v[38:39], -0.5, v[44:45]
	v_add_f64 v[44:45], v[120:121], -v[118:119]
	v_add_f64 v[46:47], v[114:115], v[110:111]
	v_fma_f64 v[50:51], s[2:3], v[44:45], v[38:39]
	v_fmac_f64_e32 v[38:39], s[4:5], v[44:45]
	;; [unrolled: 6-line block ×8, first 2 shown]
	v_add_f64 v[72:73], v[8:9], v[90:91]
	v_fmac_f64_e32 v[8:9], -0.5, v[74:75]
	v_add_f64 v[74:75], v[84:85], -v[82:83]
	v_fma_f64 v[80:81], s[4:5], v[74:75], v[8:9]
	v_fmac_f64_e32 v[8:9], s[2:3], v[74:75]
	v_add_f64 v[74:75], v[10:11], v[84:85]
	v_fmac_f64_e32 v[10:11], -0.5, v[76:77]
	v_add_f64 v[76:77], v[90:91], -v[86:87]
	v_add_f64 v[72:73], v[72:73], v[86:87]
	v_add_f64 v[74:75], v[74:75], v[82:83]
	v_fma_f64 v[82:83], s[2:3], v[76:77], v[10:11]
	v_fmac_f64_e32 v[10:11], s[4:5], v[76:77]
	v_add_f64 v[76:77], v[12:13], v[122:123]
	v_fmac_f64_e32 v[12:13], -0.5, v[78:79]
	v_add_f64 v[78:79], v[124:125], -v[128:129]
	v_add_f64 v[86:87], v[124:125], v[128:129]
	v_add_f64 v[66:67], v[66:67], v[88:89]
	;; [unrolled: 7-line block ×9, first 2 shown]
	v_fma_f64 v[110:111], s[2:3], v[112:113], v[26:27]
	v_fmac_f64_e32 v[26:27], s[4:5], v[112:113]
	v_add_f64 v[112:113], v[32:33], v[154:155]
	v_fmac_f64_e32 v[32:33], -0.5, v[114:115]
	v_add_f64 v[114:115], v[156:157], -v[160:161]
	v_add_f64 v[118:119], v[156:157], v[160:161]
	v_fma_f64 v[116:117], s[4:5], v[114:115], v[32:33]
	v_fmac_f64_e32 v[32:33], s[2:3], v[114:115]
	v_add_f64 v[114:115], v[34:35], v[156:157]
	v_fmac_f64_e32 v[34:35], -0.5, v[118:119]
	v_add_f64 v[120:121], v[154:155], -v[158:159]
	v_fma_f64 v[118:119], s[2:3], v[120:121], v[34:35]
	v_fmac_f64_e32 v[34:35], s[4:5], v[120:121]
	scratch_load_dword v120, off, off offset:40 ; 4-byte Folded Reload
	s_waitcnt vmcnt(0)
	ds_write_b128 v120, v[40:43]
	ds_write_b128 v120, v[48:51] offset:48
	ds_write_b128 v120, v[36:39] offset:96
	scratch_load_dword v36, off, off offset:44 ; 4-byte Folded Reload
	s_waitcnt vmcnt(0)
	ds_write_b128 v36, v[44:47]
	ds_write_b128 v36, v[52:55] offset:48
	ds_write_b128 v36, v[0:3] offset:96
	;; [unrolled: 5-line block ×5, first 2 shown]
	scratch_load_dword v0, off, off offset:60 ; 4-byte Folded Reload
	v_add_f64 v[76:77], v[76:77], v[126:127]
	v_add_f64 v[78:79], v[78:79], v[128:129]
	s_waitcnt vmcnt(0)
	ds_write_b128 v0, v[76:79]
	ds_write_b128 v0, v[84:87] offset:48
	ds_write_b128 v0, v[12:15] offset:96
	scratch_load_dword v0, off, off offset:64 ; 4-byte Folded Reload
	v_add_f64 v[88:89], v[88:89], v[134:135]
	v_add_f64 v[90:91], v[90:91], v[136:137]
	s_waitcnt vmcnt(0)
	ds_write_b128 v0, v[88:91]
	ds_write_b128 v0, v[92:95] offset:48
	ds_write_b128 v0, v[16:19] offset:96
	;; [unrolled: 7-line block ×4, first 2 shown]
	scratch_load_dword v0, off, off offset:76 ; 4-byte Folded Reload
	v_accvgpr_read_b32 v122, a224
	v_add_f64 v[112:113], v[112:113], v[158:159]
	v_add_f64 v[114:115], v[114:115], v[160:161]
	v_accvgpr_read_b32 v124, a226
	v_accvgpr_read_b32 v125, a227
	s_waitcnt vmcnt(0)
	ds_write_b128 v0, v[112:115]
	ds_write_b128 v0, v[116:119] offset:48
	ds_write_b128 v0, v[32:35] offset:96
	s_waitcnt lgkmcnt(0)
	s_barrier
	ds_read_b128 v[8:11], v252
	ds_read_b128 v[116:119], v252 offset:5184
	ds_read_b128 v[112:115], v252 offset:10368
	;; [unrolled: 1-line block ×29, first 2 shown]
	v_accvgpr_read_b32 v123, a225
	s_waitcnt lgkmcnt(14)
	v_mul_f64 v[120:121], v[124:125], v[118:119]
	v_fmac_f64_e32 v[120:121], v[122:123], v[116:117]
	v_mul_f64 v[116:117], v[124:125], v[116:117]
	v_fma_f64 v[116:117], v[122:123], v[118:119], -v[116:117]
	v_accvgpr_read_b32 v122, a228
	v_accvgpr_read_b32 v124, a230
	;; [unrolled: 1-line block ×4, first 2 shown]
	v_mul_f64 v[132:133], v[124:125], v[114:115]
	v_accvgpr_read_b32 v126, a232
	v_fmac_f64_e32 v[132:133], v[122:123], v[112:113]
	v_mul_f64 v[112:113], v[124:125], v[112:113]
	v_accvgpr_read_b32 v128, a234
	v_accvgpr_read_b32 v129, a235
	v_fma_f64 v[124:125], v[122:123], v[114:115], -v[112:113]
	v_accvgpr_read_b32 v127, a233
	v_mul_f64 v[112:113], v[128:129], v[110:111]
	v_fmac_f64_e32 v[112:113], v[126:127], v[108:109]
	v_mul_f64 v[108:109], v[128:129], v[108:109]
	v_fma_f64 v[108:109], v[126:127], v[110:111], -v[108:109]
	v_accvgpr_read_b32 v126, a236
	v_accvgpr_read_b32 v128, a238
	v_accvgpr_read_b32 v129, a239
	v_accvgpr_read_b32 v127, a237
	v_mul_f64 v[134:135], v[128:129], v[106:107]
	v_fmac_f64_e32 v[134:135], v[126:127], v[104:105]
	v_mul_f64 v[104:105], v[128:129], v[104:105]
	v_fma_f64 v[126:127], v[126:127], v[106:107], -v[104:105]
	v_accvgpr_read_b32 v104, a240
	v_accvgpr_read_b32 v106, a242
	v_accvgpr_read_b32 v107, a243
	;; [unrolled: 8-line block ×5, first 2 shown]
	v_mul_f64 v[122:123], v[230:231], v[82:83]
	v_accvgpr_read_b32 v93, a159
	v_mul_f64 v[138:139], v[94:95], v[90:91]
	v_fmac_f64_e32 v[122:123], v[228:229], v[80:81]
	v_mul_f64 v[80:81], v[230:231], v[80:81]
	v_mul_f64 v[100:101], v[218:219], v[78:79]
	v_fmac_f64_e32 v[138:139], v[92:93], v[88:89]
	v_mul_f64 v[88:89], v[94:95], v[88:89]
	v_fma_f64 v[80:81], v[228:229], v[82:83], -v[80:81]
	v_mul_f64 v[94:95], v[210:211], v[86:87]
	v_mul_f64 v[82:83], v[210:211], v[84:85]
	v_fmac_f64_e32 v[100:101], v[216:217], v[76:77]
	v_mul_f64 v[76:77], v[218:219], v[76:77]
	v_fmac_f64_e32 v[94:95], v[208:209], v[84:85]
	v_fma_f64 v[96:97], v[208:209], v[86:87], -v[82:83]
	v_fma_f64 v[78:79], v[216:217], v[78:79], -v[76:77]
	v_mul_f64 v[76:77], v[242:243], v[74:75]
	v_accvgpr_read_b32 v82, a154
	v_fmac_f64_e32 v[76:77], v[240:241], v[72:73]
	v_mul_f64 v[72:73], v[242:243], v[72:73]
	v_accvgpr_read_b32 v84, a156
	v_accvgpr_read_b32 v85, a157
	v_fma_f64 v[72:73], v[240:241], v[74:75], -v[72:73]
	v_accvgpr_read_b32 v83, a155
	v_mul_f64 v[102:103], v[84:85], v[70:71]
	v_mul_f64 v[74:75], v[214:215], v[66:67]
	v_fmac_f64_e32 v[102:103], v[82:83], v[68:69]
	v_mul_f64 v[68:69], v[84:85], v[68:69]
	v_fmac_f64_e32 v[74:75], v[212:213], v[64:65]
	v_mul_f64 v[64:65], v[214:215], v[64:65]
	v_fma_f64 v[98:99], v[82:83], v[70:71], -v[68:69]
	v_fma_f64 v[64:65], v[212:213], v[66:67], -v[64:65]
	s_waitcnt lgkmcnt(13)
	v_mul_f64 v[66:67], v[238:239], v[62:63]
	v_accvgpr_read_b32 v68, a166
	v_fmac_f64_e32 v[66:67], v[236:237], v[60:61]
	v_mul_f64 v[60:61], v[238:239], v[60:61]
	v_accvgpr_read_b32 v70, a168
	v_accvgpr_read_b32 v71, a169
	v_fma_f64 v[62:63], v[236:237], v[62:63], -v[60:61]
	v_accvgpr_read_b32 v69, a167
	s_waitcnt lgkmcnt(12)
	v_mul_f64 v[60:61], v[70:71], v[58:59]
	v_fmac_f64_e32 v[60:61], v[68:69], v[56:57]
	v_mul_f64 v[56:57], v[70:71], v[56:57]
	v_fma_f64 v[56:57], v[68:69], v[58:59], -v[56:57]
	v_accvgpr_read_b32 v68, a190
	v_accvgpr_read_b32 v70, a192
	;; [unrolled: 1-line block ×4, first 2 shown]
	s_waitcnt lgkmcnt(11)
	v_mul_f64 v[104:105], v[70:71], v[54:55]
	v_fmac_f64_e32 v[104:105], v[68:69], v[52:53]
	v_mul_f64 v[52:53], v[70:71], v[52:53]
	v_fma_f64 v[130:131], v[92:93], v[90:91], -v[88:89]
	v_fma_f64 v[58:59], v[68:69], v[54:55], -v[52:53]
	v_accvgpr_read_b32 v68, a252
	s_waitcnt lgkmcnt(7)
	v_mul_f64 v[90:91], v[246:247], v[42:43]
	v_accvgpr_read_b32 v70, a254
	v_accvgpr_read_b32 v71, a255
	v_fmac_f64_e32 v[90:91], v[244:245], v[40:41]
	v_mul_f64 v[40:41], v[246:247], v[40:41]
	v_accvgpr_read_b32 v69, a253
	v_mul_f64 v[54:55], v[70:71], v[50:51]
	v_fma_f64 v[86:87], v[244:245], v[42:43], -v[40:41]
	v_accvgpr_read_b32 v40, a174
	v_fmac_f64_e32 v[54:55], v[68:69], v[48:49]
	v_mul_f64 v[48:49], v[70:71], v[48:49]
	v_accvgpr_read_b32 v42, a176
	v_accvgpr_read_b32 v43, a177
	v_fma_f64 v[52:53], v[68:69], v[50:51], -v[48:49]
	v_accvgpr_read_b32 v41, a175
	s_waitcnt lgkmcnt(6)
	v_mul_f64 v[50:51], v[42:43], v[38:39]
	v_fmac_f64_e32 v[50:51], v[40:41], v[36:37]
	v_mul_f64 v[36:37], v[42:43], v[36:37]
	v_fma_f64 v[48:49], v[40:41], v[38:39], -v[36:37]
	v_accvgpr_read_b32 v36, a178
	v_accvgpr_read_b32 v38, a180
	;; [unrolled: 1-line block ×4, first 2 shown]
	s_waitcnt lgkmcnt(5)
	v_mul_f64 v[92:93], v[38:39], v[34:35]
	v_fmac_f64_e32 v[92:93], v[36:37], v[32:33]
	v_mul_f64 v[32:33], v[38:39], v[32:33]
	v_fma_f64 v[88:89], v[36:37], v[34:35], -v[32:33]
	s_waitcnt lgkmcnt(4)
	v_mul_f64 v[84:85], v[234:235], v[30:31]
	v_accvgpr_read_b32 v32, a182
	v_fmac_f64_e32 v[84:85], v[232:233], v[28:29]
	v_mul_f64 v[28:29], v[234:235], v[28:29]
	v_accvgpr_read_b32 v34, a184
	v_accvgpr_read_b32 v35, a185
	v_fma_f64 v[28:29], v[232:233], v[30:31], -v[28:29]
	v_accvgpr_read_b32 v33, a183
	s_waitcnt lgkmcnt(3)
	v_mul_f64 v[30:31], v[34:35], v[26:27]
	v_fmac_f64_e32 v[30:31], v[32:33], v[24:25]
	v_mul_f64 v[24:25], v[34:35], v[24:25]
	v_fma_f64 v[26:27], v[32:33], v[26:27], -v[24:25]
	v_accvgpr_read_b32 v32, a186
	v_accvgpr_read_b32 v34, a188
	v_accvgpr_read_b32 v35, a189
	v_accvgpr_read_b32 v33, a187
	s_waitcnt lgkmcnt(2)
	v_mul_f64 v[24:25], v[34:35], v[22:23]
	v_fmac_f64_e32 v[24:25], v[32:33], v[20:21]
	v_mul_f64 v[20:21], v[34:35], v[20:21]
	v_fma_f64 v[20:21], v[32:33], v[22:23], -v[20:21]
	v_accvgpr_read_b32 v32, a248
	v_accvgpr_read_b32 v34, a250
	v_accvgpr_read_b32 v35, a251
	v_accvgpr_read_b32 v33, a249
	s_waitcnt lgkmcnt(1)
	v_mul_f64 v[22:23], v[34:35], v[18:19]
	v_fmac_f64_e32 v[22:23], v[32:33], v[16:17]
	v_mul_f64 v[16:17], v[34:35], v[16:17]
	v_fma_f64 v[18:19], v[32:33], v[18:19], -v[16:17]
	v_accvgpr_read_b32 v32, a244
	v_accvgpr_read_b32 v34, a246
	v_accvgpr_read_b32 v35, a247
	v_accvgpr_read_b32 v33, a245
	s_waitcnt lgkmcnt(0)
	v_mul_f64 v[16:17], v[34:35], v[14:15]
	v_fmac_f64_e32 v[16:17], v[32:33], v[12:13]
	v_mul_f64 v[12:13], v[34:35], v[12:13]
	v_fma_f64 v[12:13], v[32:33], v[14:15], -v[12:13]
	v_add_f64 v[14:15], v[8:9], v[132:133]
	v_add_f64 v[14:15], v[14:15], v[134:135]
	v_add_f64 v[14:15], v[14:15], v[136:137]
	v_add_f64 v[32:33], v[14:15], v[138:139]
	v_add_f64 v[14:15], v[134:135], v[136:137]
	v_fma_f64 v[14:15], -0.5, v[14:15], v[8:9]
	v_add_f64 v[36:37], v[124:125], -v[130:131]
	v_fma_f64 v[34:35], s[16:17], v[36:37], v[14:15]
	v_add_f64 v[38:39], v[126:127], -v[128:129]
	v_add_f64 v[40:41], v[132:133], -v[134:135]
	;; [unrolled: 1-line block ×3, first 2 shown]
	v_fmac_f64_e32 v[14:15], s[10:11], v[36:37]
	v_fmac_f64_e32 v[34:35], s[14:15], v[38:39]
	v_add_f64 v[40:41], v[40:41], v[42:43]
	v_fmac_f64_e32 v[14:15], s[8:9], v[38:39]
	v_mul_f64 v[68:69], v[226:227], v[46:47]
	v_fmac_f64_e32 v[34:35], s[12:13], v[40:41]
	v_fmac_f64_e32 v[14:15], s[12:13], v[40:41]
	v_add_f64 v[40:41], v[132:133], v[138:139]
	v_fmac_f64_e32 v[68:69], v[224:225], v[44:45]
	v_mul_f64 v[44:45], v[226:227], v[44:45]
	v_fmac_f64_e32 v[8:9], -0.5, v[40:41]
	v_fma_f64 v[70:71], v[224:225], v[46:47], -v[44:45]
	v_fma_f64 v[40:41], s[10:11], v[38:39], v[8:9]
	v_add_f64 v[42:43], v[134:135], -v[132:133]
	v_add_f64 v[44:45], v[136:137], -v[138:139]
	v_fmac_f64_e32 v[8:9], s[16:17], v[38:39]
	v_add_f64 v[38:39], v[126:127], v[128:129]
	v_fmac_f64_e32 v[40:41], s[14:15], v[36:37]
	v_add_f64 v[42:43], v[42:43], v[44:45]
	v_fmac_f64_e32 v[8:9], s[8:9], v[36:37]
	v_fma_f64 v[38:39], -0.5, v[38:39], v[10:11]
	v_add_f64 v[46:47], v[132:133], -v[138:139]
	v_fmac_f64_e32 v[40:41], s[12:13], v[42:43]
	v_fmac_f64_e32 v[8:9], s[12:13], v[42:43]
	v_fma_f64 v[42:43], s[10:11], v[46:47], v[38:39]
	v_add_f64 v[82:83], v[134:135], -v[136:137]
	v_add_f64 v[44:45], v[124:125], -v[126:127]
	;; [unrolled: 1-line block ×3, first 2 shown]
	v_fmac_f64_e32 v[38:39], s[16:17], v[46:47]
	v_fmac_f64_e32 v[42:43], s[8:9], v[82:83]
	v_add_f64 v[44:45], v[44:45], v[132:133]
	v_fmac_f64_e32 v[38:39], s[14:15], v[82:83]
	v_fmac_f64_e32 v[42:43], s[12:13], v[44:45]
	;; [unrolled: 1-line block ×3, first 2 shown]
	v_add_f64 v[44:45], v[124:125], v[130:131]
	v_add_f64 v[36:37], v[10:11], v[124:125]
	v_fmac_f64_e32 v[10:11], -0.5, v[44:45]
	v_add_f64 v[36:37], v[36:37], v[126:127]
	v_fma_f64 v[44:45], s[16:17], v[82:83], v[10:11]
	v_add_f64 v[124:125], v[126:127], -v[124:125]
	v_add_f64 v[126:127], v[128:129], -v[130:131]
	v_fmac_f64_e32 v[10:11], s[10:11], v[82:83]
	v_fmac_f64_e32 v[44:45], s[8:9], v[46:47]
	v_add_f64 v[124:125], v[124:125], v[126:127]
	v_fmac_f64_e32 v[10:11], s[14:15], v[46:47]
	v_add_f64 v[82:83], v[114:115], v[118:119]
	v_add_f64 v[36:37], v[36:37], v[128:129]
	v_fmac_f64_e32 v[44:45], s[12:13], v[124:125]
	v_fmac_f64_e32 v[10:11], s[12:13], v[124:125]
	v_fma_f64 v[82:83], -0.5, v[82:83], v[120:121]
	v_add_f64 v[124:125], v[108:109], -v[80:81]
	v_add_f64 v[36:37], v[36:37], v[130:131]
	v_fma_f64 v[126:127], s[16:17], v[124:125], v[82:83]
	v_add_f64 v[128:129], v[106:107], -v[110:111]
	v_add_f64 v[130:131], v[112:113], -v[114:115]
	;; [unrolled: 1-line block ×3, first 2 shown]
	v_fmac_f64_e32 v[82:83], s[10:11], v[124:125]
	v_fmac_f64_e32 v[126:127], s[14:15], v[128:129]
	v_add_f64 v[130:131], v[130:131], v[132:133]
	v_fmac_f64_e32 v[82:83], s[8:9], v[128:129]
	v_fmac_f64_e32 v[126:127], s[12:13], v[130:131]
	v_fmac_f64_e32 v[82:83], s[12:13], v[130:131]
	v_add_f64 v[130:131], v[112:113], v[122:123]
	v_add_f64 v[46:47], v[120:121], v[112:113]
	v_fmac_f64_e32 v[120:121], -0.5, v[130:131]
	v_add_f64 v[46:47], v[46:47], v[114:115]
	v_fma_f64 v[130:131], s[10:11], v[128:129], v[120:121]
	v_add_f64 v[132:133], v[114:115], -v[112:113]
	v_add_f64 v[134:135], v[118:119], -v[122:123]
	v_fmac_f64_e32 v[120:121], s[16:17], v[128:129]
	v_add_f64 v[128:129], v[106:107], v[110:111]
	v_add_f64 v[46:47], v[46:47], v[118:119]
	v_fmac_f64_e32 v[130:131], s[14:15], v[124:125]
	v_add_f64 v[132:133], v[132:133], v[134:135]
	v_fmac_f64_e32 v[120:121], s[8:9], v[124:125]
	v_fma_f64 v[128:129], -0.5, v[128:129], v[116:117]
	v_add_f64 v[112:113], v[112:113], -v[122:123]
	v_add_f64 v[46:47], v[46:47], v[122:123]
	v_fmac_f64_e32 v[130:131], s[12:13], v[132:133]
	v_fmac_f64_e32 v[120:121], s[12:13], v[132:133]
	v_fma_f64 v[122:123], s[10:11], v[112:113], v[128:129]
	v_add_f64 v[114:115], v[114:115], -v[118:119]
	v_add_f64 v[118:119], v[108:109], -v[106:107]
	;; [unrolled: 1-line block ×3, first 2 shown]
	v_fmac_f64_e32 v[128:129], s[16:17], v[112:113]
	v_add_f64 v[124:125], v[116:117], v[108:109]
	v_fmac_f64_e32 v[122:123], s[8:9], v[114:115]
	v_add_f64 v[118:119], v[118:119], v[132:133]
	;; [unrolled: 2-line block ×3, first 2 shown]
	v_fmac_f64_e32 v[122:123], s[12:13], v[118:119]
	v_fmac_f64_e32 v[128:129], s[12:13], v[118:119]
	v_add_f64 v[118:119], v[108:109], v[80:81]
	v_add_f64 v[124:125], v[124:125], v[110:111]
	v_fmac_f64_e32 v[116:117], -0.5, v[118:119]
	v_add_f64 v[124:125], v[124:125], v[80:81]
	v_fma_f64 v[118:119], s[16:17], v[114:115], v[116:117]
	v_add_f64 v[106:107], v[106:107], -v[108:109]
	v_add_f64 v[80:81], v[110:111], -v[80:81]
	v_fmac_f64_e32 v[116:117], s[10:11], v[114:115]
	v_add_f64 v[80:81], v[106:107], v[80:81]
	v_fmac_f64_e32 v[116:117], s[14:15], v[112:113]
	v_fmac_f64_e32 v[116:117], s[12:13], v[80:81]
	v_mul_f64 v[110:111], v[116:117], s[16:17]
	v_fmac_f64_e32 v[110:111], s[20:21], v[120:121]
	v_add_f64 v[224:225], v[8:9], v[110:111]
	v_add_f64 v[244:245], v[8:9], -v[110:111]
	v_add_f64 v[8:9], v[4:5], v[100:101]
	v_mul_f64 v[116:117], v[116:117], s[20:21]
	v_add_f64 v[8:9], v[8:9], v[102:103]
	v_mul_f64 v[106:107], v[122:123], s[14:15]
	v_fmac_f64_e32 v[116:117], s[10:11], v[120:121]
	v_add_f64 v[8:9], v[8:9], v[66:67]
	v_fmac_f64_e32 v[118:119], s[8:9], v[112:113]
	v_fmac_f64_e32 v[106:107], s[22:23], v[126:127]
	v_mul_f64 v[112:113], v[128:129], s[14:15]
	v_add_f64 v[226:227], v[10:11], v[116:117]
	v_mul_f64 v[120:121], v[128:129], s[18:19]
	v_add_f64 v[246:247], v[10:11], -v[116:117]
	v_add_f64 v[10:11], v[8:9], v[104:105]
	v_add_f64 v[8:9], v[102:103], v[66:67]
	;; [unrolled: 1-line block ×3, first 2 shown]
	v_fmac_f64_e32 v[112:113], s[18:19], v[82:83]
	v_fmac_f64_e32 v[120:121], s[8:9], v[82:83]
	v_add_f64 v[232:233], v[34:35], -v[106:107]
	v_fma_f64 v[8:9], -0.5, v[8:9], v[4:5]
	v_add_f64 v[34:35], v[78:79], -v[58:59]
	v_fmac_f64_e32 v[118:119], s[12:13], v[80:81]
	v_add_f64 v[216:217], v[32:33], v[46:47]
	v_add_f64 v[80:81], v[14:15], v[112:113]
	;; [unrolled: 1-line block ×4, first 2 shown]
	v_add_f64 v[236:237], v[32:33], -v[46:47]
	v_add_f64 v[240:241], v[14:15], -v[112:113]
	;; [unrolled: 1-line block ×4, first 2 shown]
	v_fma_f64 v[14:15], s[16:17], v[34:35], v[8:9]
	v_add_f64 v[36:37], v[98:99], -v[62:63]
	v_add_f64 v[32:33], v[100:101], -v[102:103]
	;; [unrolled: 1-line block ×3, first 2 shown]
	v_fmac_f64_e32 v[8:9], s[10:11], v[34:35]
	v_fmac_f64_e32 v[14:15], s[14:15], v[36:37]
	v_add_f64 v[32:33], v[32:33], v[38:39]
	v_fmac_f64_e32 v[8:9], s[8:9], v[36:37]
	v_mul_f64 v[108:109], v[118:119], s[16:17]
	v_fmac_f64_e32 v[14:15], s[12:13], v[32:33]
	v_fmac_f64_e32 v[8:9], s[12:13], v[32:33]
	v_add_f64 v[32:33], v[100:101], v[104:105]
	v_fmac_f64_e32 v[108:109], s[12:13], v[130:131]
	v_fmac_f64_e32 v[4:5], -0.5, v[32:33]
	v_add_f64 v[208:209], v[40:41], v[108:109]
	v_add_f64 v[228:229], v[40:41], -v[108:109]
	v_fma_f64 v[32:33], s[10:11], v[36:37], v[4:5]
	v_add_f64 v[38:39], v[102:103], -v[100:101]
	v_add_f64 v[40:41], v[66:67], -v[104:105]
	v_fmac_f64_e32 v[4:5], s[16:17], v[36:37]
	v_mul_f64 v[114:115], v[122:123], s[22:23]
	v_mul_f64 v[118:119], v[118:119], s[12:13]
	v_fmac_f64_e32 v[32:33], s[14:15], v[34:35]
	v_add_f64 v[38:39], v[38:39], v[40:41]
	v_fmac_f64_e32 v[4:5], s[8:9], v[34:35]
	v_add_f64 v[36:37], v[98:99], v[62:63]
	v_fmac_f64_e32 v[114:115], s[8:9], v[126:127]
	v_fmac_f64_e32 v[118:119], s[10:11], v[130:131]
	v_fmac_f64_e32 v[32:33], s[12:13], v[38:39]
	v_fmac_f64_e32 v[4:5], s[12:13], v[38:39]
	v_fma_f64 v[38:39], -0.5, v[36:37], v[6:7]
	v_add_f64 v[36:37], v[100:101], -v[104:105]
	v_add_f64 v[214:215], v[42:43], v[114:115]
	v_add_f64 v[210:211], v[44:45], v[118:119]
	v_add_f64 v[234:235], v[42:43], -v[114:115]
	v_add_f64 v[230:231], v[44:45], -v[118:119]
	v_fma_f64 v[46:47], s[10:11], v[36:37], v[38:39]
	v_add_f64 v[40:41], v[102:103], -v[66:67]
	v_add_f64 v[42:43], v[78:79], -v[98:99]
	;; [unrolled: 1-line block ×3, first 2 shown]
	v_fmac_f64_e32 v[38:39], s[16:17], v[36:37]
	v_fmac_f64_e32 v[46:47], s[8:9], v[40:41]
	v_add_f64 v[42:43], v[42:43], v[44:45]
	v_fmac_f64_e32 v[38:39], s[14:15], v[40:41]
	v_fmac_f64_e32 v[46:47], s[12:13], v[42:43]
	;; [unrolled: 1-line block ×3, first 2 shown]
	v_add_f64 v[42:43], v[78:79], v[58:59]
	v_add_f64 v[34:35], v[6:7], v[78:79]
	v_fmac_f64_e32 v[6:7], -0.5, v[42:43]
	v_fma_f64 v[100:101], s[16:17], v[40:41], v[6:7]
	v_add_f64 v[42:43], v[98:99], -v[78:79]
	v_add_f64 v[44:45], v[62:63], -v[58:59]
	v_fmac_f64_e32 v[6:7], s[10:11], v[40:41]
	v_add_f64 v[34:35], v[34:35], v[98:99]
	v_fmac_f64_e32 v[100:101], s[8:9], v[36:37]
	v_add_f64 v[42:43], v[42:43], v[44:45]
	v_fmac_f64_e32 v[6:7], s[14:15], v[36:37]
	v_add_f64 v[40:41], v[74:75], v[60:61]
	v_add_f64 v[34:35], v[34:35], v[62:63]
	v_fmac_f64_e32 v[100:101], s[12:13], v[42:43]
	v_fmac_f64_e32 v[6:7], s[12:13], v[42:43]
	v_fma_f64 v[40:41], -0.5, v[40:41], v[94:95]
	v_add_f64 v[42:43], v[72:73], -v[52:53]
	v_add_f64 v[34:35], v[34:35], v[58:59]
	v_fma_f64 v[44:45], s[16:17], v[42:43], v[40:41]
	v_add_f64 v[58:59], v[64:65], -v[56:57]
	v_add_f64 v[62:63], v[76:77], -v[74:75]
	v_add_f64 v[66:67], v[54:55], -v[60:61]
	v_fmac_f64_e32 v[40:41], s[10:11], v[42:43]
	v_fmac_f64_e32 v[44:45], s[14:15], v[58:59]
	v_add_f64 v[62:63], v[62:63], v[66:67]
	v_fmac_f64_e32 v[40:41], s[8:9], v[58:59]
	v_add_f64 v[36:37], v[94:95], v[76:77]
	v_fmac_f64_e32 v[44:45], s[12:13], v[62:63]
	v_fmac_f64_e32 v[40:41], s[12:13], v[62:63]
	v_add_f64 v[62:63], v[76:77], v[54:55]
	v_add_f64 v[36:37], v[36:37], v[74:75]
	v_fmac_f64_e32 v[94:95], -0.5, v[62:63]
	v_add_f64 v[36:37], v[36:37], v[60:61]
	v_fma_f64 v[62:63], s[10:11], v[58:59], v[94:95]
	v_add_f64 v[66:67], v[74:75], -v[76:77]
	v_add_f64 v[78:79], v[60:61], -v[54:55]
	v_fmac_f64_e32 v[94:95], s[16:17], v[58:59]
	v_add_f64 v[58:59], v[64:65], v[56:57]
	v_add_f64 v[36:37], v[36:37], v[54:55]
	v_fmac_f64_e32 v[62:63], s[14:15], v[42:43]
	v_add_f64 v[66:67], v[66:67], v[78:79]
	v_fmac_f64_e32 v[94:95], s[8:9], v[42:43]
	v_fma_f64 v[98:99], -0.5, v[58:59], v[96:97]
	v_add_f64 v[54:55], v[76:77], -v[54:55]
	v_fmac_f64_e32 v[62:63], s[12:13], v[66:67]
	v_fmac_f64_e32 v[94:95], s[12:13], v[66:67]
	v_fma_f64 v[58:59], s[10:11], v[54:55], v[98:99]
	v_add_f64 v[60:61], v[74:75], -v[60:61]
	v_add_f64 v[66:67], v[72:73], -v[64:65]
	;; [unrolled: 1-line block ×3, first 2 shown]
	v_fmac_f64_e32 v[98:99], s[16:17], v[54:55]
	v_add_f64 v[42:43], v[96:97], v[72:73]
	v_fmac_f64_e32 v[58:59], s[8:9], v[60:61]
	v_add_f64 v[66:67], v[66:67], v[74:75]
	;; [unrolled: 2-line block ×3, first 2 shown]
	v_fmac_f64_e32 v[58:59], s[12:13], v[66:67]
	v_fmac_f64_e32 v[98:99], s[12:13], v[66:67]
	v_add_f64 v[66:67], v[72:73], v[52:53]
	v_add_f64 v[42:43], v[42:43], v[56:57]
	v_fmac_f64_e32 v[96:97], -0.5, v[66:67]
	v_add_f64 v[42:43], v[42:43], v[52:53]
	v_fma_f64 v[78:79], s[16:17], v[60:61], v[96:97]
	v_add_f64 v[64:65], v[64:65], -v[72:73]
	v_add_f64 v[52:53], v[56:57], -v[52:53]
	v_fmac_f64_e32 v[96:97], s[10:11], v[60:61]
	v_add_f64 v[52:53], v[64:65], v[52:53]
	v_fmac_f64_e32 v[96:97], s[14:15], v[54:55]
	v_fmac_f64_e32 v[96:97], s[12:13], v[52:53]
	v_mul_f64 v[102:103], v[96:97], s[16:17]
	v_mul_f64 v[96:97], v[96:97], s[20:21]
	v_fmac_f64_e32 v[78:79], s[8:9], v[54:55]
	v_mul_f64 v[104:105], v[98:99], s[14:15]
	v_fmac_f64_e32 v[96:97], s[10:11], v[94:95]
	v_fmac_f64_e32 v[78:79], s[12:13], v[52:53]
	v_mul_f64 v[52:53], v[58:59], s[14:15]
	v_fmac_f64_e32 v[102:103], s[20:21], v[94:95]
	v_fmac_f64_e32 v[104:105], s[18:19], v[40:41]
	v_add_f64 v[66:67], v[34:35], v[42:43]
	v_mul_f64 v[106:107], v[58:59], s[22:23]
	v_add_f64 v[58:59], v[6:7], v[96:97]
	v_mul_f64 v[94:95], v[98:99], s[18:19]
	v_add_f64 v[42:43], v[34:35], -v[42:43]
	v_add_f64 v[34:35], v[6:7], -v[96:97]
	v_add_f64 v[6:7], v[92:93], v[30:31]
	v_add_f64 v[64:65], v[10:11], v[36:37]
	v_fmac_f64_e32 v[52:53], s[22:23], v[44:45]
	v_mul_f64 v[54:55], v[78:79], s[16:17]
	v_add_f64 v[60:61], v[8:9], v[104:105]
	v_mul_f64 v[108:109], v[78:79], s[12:13]
	v_fmac_f64_e32 v[94:95], s[8:9], v[40:41]
	v_add_f64 v[40:41], v[10:11], -v[36:37]
	v_add_f64 v[36:37], v[8:9], -v[104:105]
	v_fma_f64 v[6:7], -0.5, v[6:7], v[0:1]
	v_add_f64 v[8:9], v[86:87], -v[18:19]
	v_add_f64 v[72:73], v[14:15], v[52:53]
	v_fmac_f64_e32 v[54:55], s[12:13], v[62:63]
	v_fmac_f64_e32 v[106:107], s[8:9], v[44:45]
	;; [unrolled: 1-line block ×3, first 2 shown]
	v_add_f64 v[62:63], v[38:39], v[94:95]
	v_add_f64 v[44:45], v[14:15], -v[52:53]
	v_add_f64 v[38:39], v[38:39], -v[94:95]
	v_fma_f64 v[10:11], s[16:17], v[8:9], v[6:7]
	v_add_f64 v[14:15], v[88:89], -v[26:27]
	v_add_f64 v[94:95], v[90:91], -v[92:93]
	;; [unrolled: 1-line block ×3, first 2 shown]
	v_fmac_f64_e32 v[6:7], s[10:11], v[8:9]
	v_fmac_f64_e32 v[10:11], s[14:15], v[14:15]
	v_add_f64 v[94:95], v[94:95], v[96:97]
	v_fmac_f64_e32 v[6:7], s[8:9], v[14:15]
	v_fmac_f64_e32 v[10:11], s[12:13], v[94:95]
	;; [unrolled: 1-line block ×3, first 2 shown]
	v_add_f64 v[94:95], v[90:91], v[22:23]
	v_add_f64 v[76:77], v[32:33], v[54:55]
	;; [unrolled: 1-line block ×3, first 2 shown]
	v_add_f64 v[52:53], v[32:33], -v[54:55]
	v_add_f64 v[32:33], v[4:5], -v[102:103]
	v_add_f64 v[4:5], v[0:1], v[90:91]
	v_fmac_f64_e32 v[0:1], -0.5, v[94:95]
	v_fma_f64 v[96:97], s[10:11], v[14:15], v[0:1]
	v_fmac_f64_e32 v[0:1], s[16:17], v[14:15]
	v_fmac_f64_e32 v[96:97], s[14:15], v[8:9]
	;; [unrolled: 1-line block ×3, first 2 shown]
	v_add_f64 v[8:9], v[2:3], v[86:87]
	v_add_f64 v[8:9], v[8:9], v[88:89]
	v_add_f64 v[94:95], v[92:93], -v[90:91]
	v_add_f64 v[98:99], v[30:31], -v[22:23]
	v_add_f64 v[8:9], v[8:9], v[26:27]
	v_add_f64 v[4:5], v[4:5], v[92:93]
	;; [unrolled: 1-line block ×6, first 2 shown]
	v_fmac_f64_e32 v[96:97], s[12:13], v[94:95]
	v_fmac_f64_e32 v[0:1], s[12:13], v[94:95]
	v_fma_f64 v[94:95], -0.5, v[8:9], v[2:3]
	v_add_f64 v[8:9], v[90:91], -v[22:23]
	v_add_f64 v[4:5], v[4:5], v[22:23]
	v_fma_f64 v[90:91], s[10:11], v[8:9], v[94:95]
	v_add_f64 v[22:23], v[92:93], -v[30:31]
	v_add_f64 v[30:31], v[86:87], -v[88:89]
	;; [unrolled: 1-line block ×3, first 2 shown]
	v_fmac_f64_e32 v[94:95], s[16:17], v[8:9]
	v_fmac_f64_e32 v[90:91], s[8:9], v[22:23]
	v_add_f64 v[30:31], v[30:31], v[92:93]
	v_fmac_f64_e32 v[94:95], s[14:15], v[22:23]
	v_fmac_f64_e32 v[90:91], s[12:13], v[30:31]
	;; [unrolled: 1-line block ×3, first 2 shown]
	v_add_f64 v[30:31], v[86:87], v[18:19]
	v_fmac_f64_e32 v[2:3], -0.5, v[30:31]
	v_fma_f64 v[92:93], s[16:17], v[22:23], v[2:3]
	v_add_f64 v[30:31], v[88:89], -v[86:87]
	v_add_f64 v[18:19], v[26:27], -v[18:19]
	v_fmac_f64_e32 v[2:3], s[10:11], v[22:23]
	v_fmac_f64_e32 v[92:93], s[8:9], v[8:9]
	v_add_f64 v[18:19], v[30:31], v[18:19]
	v_fmac_f64_e32 v[2:3], s[14:15], v[8:9]
	v_fmac_f64_e32 v[92:93], s[12:13], v[18:19]
	;; [unrolled: 1-line block ×3, first 2 shown]
	v_add_f64 v[18:19], v[84:85], v[24:25]
	v_fma_f64 v[22:23], -0.5, v[18:19], v[68:69]
	v_add_f64 v[18:19], v[48:49], -v[12:13]
	v_fma_f64 v[30:31], s[16:17], v[18:19], v[22:23]
	v_add_f64 v[26:27], v[28:29], -v[20:21]
	v_add_f64 v[86:87], v[50:51], -v[84:85]
	;; [unrolled: 1-line block ×3, first 2 shown]
	v_fmac_f64_e32 v[22:23], s[10:11], v[18:19]
	v_fmac_f64_e32 v[30:31], s[14:15], v[26:27]
	v_add_f64 v[86:87], v[86:87], v[88:89]
	v_fmac_f64_e32 v[22:23], s[8:9], v[26:27]
	v_fmac_f64_e32 v[30:31], s[12:13], v[86:87]
	v_fmac_f64_e32 v[22:23], s[12:13], v[86:87]
	v_add_f64 v[86:87], v[50:51], v[16:17]
	v_add_f64 v[8:9], v[68:69], v[50:51]
	v_fmac_f64_e32 v[68:69], -0.5, v[86:87]
	v_fma_f64 v[88:89], s[10:11], v[26:27], v[68:69]
	v_fmac_f64_e32 v[68:69], s[16:17], v[26:27]
	v_fmac_f64_e32 v[88:89], s[14:15], v[18:19]
	v_fmac_f64_e32 v[68:69], s[8:9], v[18:19]
	v_add_f64 v[18:19], v[70:71], v[48:49]
	v_add_f64 v[86:87], v[84:85], -v[50:51]
	v_add_f64 v[98:99], v[24:25], -v[16:17]
	v_add_f64 v[18:19], v[18:19], v[28:29]
	v_add_f64 v[8:9], v[8:9], v[84:85]
	;; [unrolled: 1-line block ×5, first 2 shown]
	v_fmac_f64_e32 v[88:89], s[12:13], v[86:87]
	v_fmac_f64_e32 v[68:69], s[12:13], v[86:87]
	v_add_f64 v[86:87], v[18:19], v[12:13]
	v_add_f64 v[18:19], v[28:29], v[20:21]
	;; [unrolled: 1-line block ×3, first 2 shown]
	v_fma_f64 v[98:99], -0.5, v[18:19], v[70:71]
	v_add_f64 v[16:17], v[50:51], -v[16:17]
	v_fma_f64 v[18:19], s[10:11], v[16:17], v[98:99]
	v_add_f64 v[24:25], v[84:85], -v[24:25]
	v_add_f64 v[26:27], v[48:49], -v[28:29]
	;; [unrolled: 1-line block ×3, first 2 shown]
	v_fmac_f64_e32 v[98:99], s[16:17], v[16:17]
	v_fmac_f64_e32 v[18:19], s[8:9], v[24:25]
	v_add_f64 v[26:27], v[26:27], v[50:51]
	v_fmac_f64_e32 v[98:99], s[14:15], v[24:25]
	v_fmac_f64_e32 v[18:19], s[12:13], v[26:27]
	;; [unrolled: 1-line block ×3, first 2 shown]
	v_add_f64 v[26:27], v[48:49], v[12:13]
	v_fmac_f64_e32 v[70:71], -0.5, v[26:27]
	v_fma_f64 v[50:51], s[16:17], v[24:25], v[70:71]
	v_add_f64 v[26:27], v[28:29], -v[48:49]
	v_add_f64 v[12:13], v[20:21], -v[12:13]
	v_fmac_f64_e32 v[50:51], s[8:9], v[16:17]
	v_add_f64 v[12:13], v[26:27], v[12:13]
	v_fmac_f64_e32 v[70:71], s[10:11], v[24:25]
	v_fmac_f64_e32 v[50:51], s[12:13], v[12:13]
	v_fmac_f64_e32 v[70:71], s[14:15], v[16:17]
	v_add_f64 v[74:75], v[46:47], v[106:107]
	v_add_f64 v[46:47], v[46:47], -v[106:107]
	v_fmac_f64_e32 v[70:71], s[12:13], v[12:13]
	v_mul_f64 v[84:85], v[50:51], s[16:17]
	v_mul_f64 v[106:107], v[50:51], s[12:13]
	v_add_f64 v[78:79], v[100:101], v[108:109]
	v_add_f64 v[54:55], v[100:101], -v[108:109]
	v_mul_f64 v[12:13], v[18:19], s[14:15]
	v_fmac_f64_e32 v[84:85], s[12:13], v[88:89]
	v_mul_f64 v[100:101], v[70:71], s[16:17]
	v_mul_f64 v[102:103], v[98:99], s[14:15]
	v_mul_f64 v[104:105], v[18:19], s[22:23]
	v_fmac_f64_e32 v[106:107], s[10:11], v[88:89]
	v_mul_f64 v[88:89], v[70:71], s[20:21]
	v_mul_f64 v[98:99], v[98:99], s[18:19]
	v_fmac_f64_e32 v[12:13], s[22:23], v[30:31]
	v_fmac_f64_e32 v[100:101], s[20:21], v[68:69]
	;; [unrolled: 1-line block ×6, first 2 shown]
	v_accvgpr_read_b32 v120, a128
	v_add_f64 v[24:25], v[4:5], v[8:9]
	v_add_f64 v[28:29], v[10:11], v[12:13]
	;; [unrolled: 1-line block ×10, first 2 shown]
	v_add_f64 v[8:9], v[4:5], -v[8:9]
	v_add_f64 v[12:13], v[10:11], -v[12:13]
	;; [unrolled: 1-line block ×10, first 2 shown]
	v_accvgpr_read_b32 v122, a130
	v_accvgpr_read_b32 v123, a131
	s_barrier
	ds_write_b128 v177, v[216:219]
	ds_write_b128 v177, v[212:215] offset:144
	ds_write_b128 v177, v[208:211] offset:288
	ds_write_b128 v177, v[224:227] offset:432
	ds_write_b128 v177, v[80:83] offset:576
	ds_write_b128 v177, v[236:239] offset:720
	ds_write_b128 v177, v[232:235] offset:864
	ds_write_b128 v177, v[228:231] offset:1008
	ds_write_b128 v177, v[244:247] offset:1152
	ds_write_b128 v177, v[240:243] offset:1296
	ds_write_b128 v163, v[64:67]
	ds_write_b128 v163, v[72:75] offset:144
	ds_write_b128 v163, v[76:79] offset:288
	ds_write_b128 v163, v[56:59] offset:432
	ds_write_b128 v163, v[60:63] offset:576
	ds_write_b128 v163, v[40:43] offset:720
	ds_write_b128 v163, v[44:47] offset:864
	ds_write_b128 v163, v[52:55] offset:1008
	ds_write_b128 v163, v[32:35] offset:1152
	ds_write_b128 v163, v[36:39] offset:1296
	;; [unrolled: 10-line block ×3, first 2 shown]
	s_waitcnt lgkmcnt(0)
	s_barrier
	ds_read_b128 v[28:31], v252
	ds_read_b128 v[116:119], v252 offset:8640
	ds_read_b128 v[112:115], v252 offset:17280
	;; [unrolled: 1-line block ×29, first 2 shown]
	v_accvgpr_read_b32 v121, a129
	s_waitcnt lgkmcnt(14)
	v_mul_f64 v[136:137], v[122:123], v[118:119]
	v_fmac_f64_e32 v[136:137], v[120:121], v[116:117]
	v_mul_f64 v[116:117], v[122:123], v[116:117]
	v_fma_f64 v[140:141], v[120:121], v[118:119], -v[116:117]
	v_accvgpr_read_b32 v119, a107
	v_accvgpr_read_b32 v118, a106
	v_accvgpr_read_b32 v117, a105
	v_accvgpr_read_b32 v116, a104
	v_mul_f64 v[146:147], v[118:119], v[114:115]
	v_fmac_f64_e32 v[146:147], v[116:117], v[112:113]
	v_mul_f64 v[112:113], v[118:119], v[112:113]
	v_fma_f64 v[148:149], v[116:117], v[114:115], -v[112:113]
	v_accvgpr_read_b32 v115, a95
	v_accvgpr_read_b32 v114, a94
	v_accvgpr_read_b32 v113, a93
	v_accvgpr_read_b32 v112, a92
	;; [unrolled: 8-line block ×5, first 2 shown]
	v_mul_f64 v[96:97], v[106:107], v[100:101]
	v_fma_f64 v[124:125], v[104:105], v[102:103], -v[96:97]
	v_accvgpr_read_b32 v99, a59
	v_accvgpr_read_b32 v98, a58
	v_accvgpr_read_b32 v97, a57
	v_accvgpr_read_b32 v96, a56
	v_mul_f64 v[132:133], v[98:99], v[94:95]
	v_fmac_f64_e32 v[132:133], v[96:97], v[92:93]
	v_mul_f64 v[92:93], v[98:99], v[92:93]
	v_fma_f64 v[138:139], v[96:97], v[94:95], -v[92:93]
	v_accvgpr_read_b32 v95, a63
	v_accvgpr_read_b32 v94, a62
	v_accvgpr_read_b32 v93, a61
	v_accvgpr_read_b32 v92, a60
	v_mul_f64 v[126:127], v[94:95], v[90:91]
	v_fmac_f64_e32 v[126:127], v[92:93], v[88:89]
	;; [unrolled: 8-line block ×7, first 2 shown]
	v_mul_f64 v[68:69], v[82:83], v[68:69]
	v_fma_f64 v[68:69], v[80:81], v[70:71], -v[68:69]
	v_accvgpr_read_b32 v80, a96
	v_accvgpr_read_b32 v82, a98
	v_accvgpr_read_b32 v83, a99
	v_accvgpr_read_b32 v81, a97
	s_waitcnt lgkmcnt(13)
	v_mul_f64 v[70:71], v[82:83], v[66:67]
	v_fmac_f64_e32 v[70:71], v[80:81], v[64:65]
	v_mul_f64 v[64:65], v[82:83], v[64:65]
	v_fma_f64 v[66:67], v[80:81], v[66:67], -v[64:65]
	v_accvgpr_read_b32 v80, a124
	v_accvgpr_read_b32 v82, a126
	v_accvgpr_read_b32 v83, a127
	v_accvgpr_read_b32 v81, a125
	s_waitcnt lgkmcnt(12)
	v_mul_f64 v[64:65], v[82:83], v[62:63]
	v_fmac_f64_e32 v[64:65], v[80:81], v[60:61]
	;; [unrolled: 9-line block ×8, first 2 shown]
	v_mul_f64 v[36:37], v[42:43], v[36:37]
	v_fma_f64 v[112:113], v[40:41], v[38:39], -v[36:37]
	v_accvgpr_read_b32 v36, a116
	v_accvgpr_read_b32 v38, a118
	;; [unrolled: 1-line block ×3, first 2 shown]
	v_mul_f64 v[122:123], v[106:107], v[102:103]
	v_accvgpr_read_b32 v37, a117
	s_waitcnt lgkmcnt(3)
	v_mul_f64 v[106:107], v[38:39], v[34:35]
	v_fmac_f64_e32 v[106:107], v[36:37], v[32:33]
	v_mul_f64 v[32:33], v[38:39], v[32:33]
	v_fma_f64 v[114:115], v[36:37], v[34:35], -v[32:33]
	v_accvgpr_read_b32 v32, a132
	v_accvgpr_read_b32 v34, a134
	;; [unrolled: 1-line block ×3, first 2 shown]
	v_fmac_f64_e32 v[122:123], v[104:105], v[100:101]
	v_accvgpr_read_b32 v33, a133
	s_waitcnt lgkmcnt(2)
	v_mul_f64 v[100:101], v[34:35], v[26:27]
	v_fmac_f64_e32 v[100:101], v[32:33], v[24:25]
	v_mul_f64 v[24:25], v[34:35], v[24:25]
	v_fma_f64 v[102:103], v[32:33], v[26:27], -v[24:25]
	v_accvgpr_read_b32 v24, a136
	v_accvgpr_read_b32 v26, a138
	;; [unrolled: 1-line block ×4, first 2 shown]
	s_waitcnt lgkmcnt(1)
	v_mul_f64 v[116:117], v[26:27], v[22:23]
	v_fmac_f64_e32 v[116:117], v[24:25], v[20:21]
	v_mul_f64 v[20:21], v[26:27], v[20:21]
	v_fma_f64 v[118:119], v[24:25], v[22:23], -v[20:21]
	v_accvgpr_read_b32 v20, a144
	v_accvgpr_read_b32 v22, a146
	;; [unrolled: 1-line block ×4, first 2 shown]
	s_waitcnt lgkmcnt(0)
	v_mul_f64 v[104:105], v[22:23], v[18:19]
	v_fmac_f64_e32 v[104:105], v[20:21], v[16:17]
	v_mul_f64 v[16:17], v[22:23], v[16:17]
	v_fma_f64 v[108:109], v[20:21], v[18:19], -v[16:17]
	v_add_f64 v[16:17], v[28:29], v[146:147]
	v_add_f64 v[32:33], v[16:17], v[154:155]
	v_add_f64 v[16:17], v[146:147], v[154:155]
	v_fmac_f64_e32 v[28:29], -0.5, v[16:17]
	v_add_f64 v[16:17], v[148:149], -v[156:157]
	v_fma_f64 v[34:35], s[4:5], v[16:17], v[28:29]
	v_fmac_f64_e32 v[28:29], s[2:3], v[16:17]
	v_add_f64 v[16:17], v[30:31], v[148:149]
	v_add_f64 v[38:39], v[16:17], v[156:157]
	v_add_f64 v[16:17], v[148:149], v[156:157]
	v_fmac_f64_e32 v[30:31], -0.5, v[16:17]
	v_add_f64 v[16:17], v[146:147], -v[154:155]
	v_fma_f64 v[40:41], s[2:3], v[16:17], v[30:31]
	v_fmac_f64_e32 v[30:31], s[4:5], v[16:17]
	;; [unrolled: 7-line block ×3, first 2 shown]
	v_add_f64 v[16:17], v[140:141], v[152:153]
	v_add_f64 v[42:43], v[16:17], v[160:161]
	v_add_f64 v[16:17], v[152:153], v[160:161]
	v_fmac_f64_e32 v[140:141], -0.5, v[16:17]
	v_add_f64 v[16:17], v[150:151], -v[158:159]
	v_fma_f64 v[26:27], s[2:3], v[16:17], v[140:141]
	v_mul_f64 v[44:45], v[26:27], s[4:5]
	v_mul_f64 v[48:49], v[26:27], 0.5
	v_fmac_f64_e32 v[44:45], 0.5, v[18:19]
	v_fmac_f64_e32 v[48:49], s[2:3], v[18:19]
	v_fmac_f64_e32 v[140:141], s[4:5], v[16:17]
	v_add_f64 v[20:21], v[32:33], v[36:37]
	v_add_f64 v[16:17], v[34:35], v[44:45]
	;; [unrolled: 1-line block ×3, first 2 shown]
	v_add_f64 v[36:37], v[32:33], -v[36:37]
	v_add_f64 v[32:33], v[34:35], -v[44:45]
	;; [unrolled: 1-line block ×3, first 2 shown]
	v_add_f64 v[40:41], v[12:13], v[132:133]
	v_add_f64 v[52:53], v[40:41], v[142:143]
	;; [unrolled: 1-line block ×3, first 2 shown]
	v_fmac_f64_e32 v[12:13], -0.5, v[40:41]
	v_add_f64 v[40:41], v[138:139], -v[144:145]
	v_fma_f64 v[54:55], s[4:5], v[40:41], v[12:13]
	v_fmac_f64_e32 v[12:13], s[2:3], v[40:41]
	v_add_f64 v[40:41], v[14:15], v[138:139]
	v_add_f64 v[58:59], v[40:41], v[144:145]
	;; [unrolled: 1-line block ×3, first 2 shown]
	v_fmac_f64_e32 v[14:15], -0.5, v[40:41]
	v_add_f64 v[40:41], v[132:133], -v[142:143]
	v_fma_f64 v[62:63], s[2:3], v[40:41], v[14:15]
	v_fmac_f64_e32 v[14:15], s[4:5], v[40:41]
	v_add_f64 v[40:41], v[122:123], v[126:127]
	v_add_f64 v[56:57], v[40:41], v[130:131]
	;; [unrolled: 1-line block ×3, first 2 shown]
	v_fmac_f64_e32 v[122:123], -0.5, v[40:41]
	v_add_f64 v[40:41], v[128:129], -v[134:135]
	v_add_f64 v[22:23], v[38:39], v[42:43]
	v_add_f64 v[38:39], v[38:39], -v[42:43]
	v_fma_f64 v[42:43], s[4:5], v[40:41], v[122:123]
	v_fmac_f64_e32 v[122:123], s[2:3], v[40:41]
	v_add_f64 v[40:41], v[124:125], v[128:129]
	v_mul_f64 v[50:51], v[140:141], -0.5
	v_add_f64 v[132:133], v[40:41], v[134:135]
	v_add_f64 v[40:41], v[128:129], v[134:135]
	v_fmac_f64_e32 v[50:51], s[2:3], v[136:137]
	v_fmac_f64_e32 v[124:125], -0.5, v[40:41]
	v_add_f64 v[40:41], v[126:127], -v[130:131]
	v_add_f64 v[26:27], v[30:31], v[50:51]
	v_add_f64 v[30:31], v[30:31], -v[50:51]
	v_fma_f64 v[50:51], s[2:3], v[40:41], v[124:125]
	v_mul_f64 v[126:127], v[50:51], s[4:5]
	v_mul_f64 v[130:131], v[50:51], 0.5
	v_fmac_f64_e32 v[124:125], s[4:5], v[40:41]
	v_fmac_f64_e32 v[126:127], 0.5, v[42:43]
	v_fmac_f64_e32 v[130:131], s[2:3], v[42:43]
	v_add_f64 v[44:45], v[52:53], v[56:57]
	v_add_f64 v[40:41], v[54:55], v[126:127]
	v_mul_f64 v[128:129], v[124:125], s[4:5]
	v_add_f64 v[42:43], v[62:63], v[130:131]
	v_mul_f64 v[124:125], v[124:125], -0.5
	v_add_f64 v[56:57], v[52:53], -v[56:57]
	v_add_f64 v[52:53], v[54:55], -v[126:127]
	;; [unrolled: 1-line block ×3, first 2 shown]
	v_add_f64 v[62:63], v[8:9], v[78:79]
	v_fmac_f64_e32 v[128:129], -0.5, v[122:123]
	v_fmac_f64_e32 v[124:125], s[2:3], v[122:123]
	v_add_f64 v[122:123], v[62:63], v[70:71]
	v_add_f64 v[62:63], v[78:79], v[70:71]
	v_fmac_f64_e32 v[8:9], -0.5, v[62:63]
	v_add_f64 v[62:63], v[74:75], -v[66:67]
	v_add_f64 v[50:51], v[14:15], v[124:125]
	v_add_f64 v[14:15], v[14:15], -v[124:125]
	v_fma_f64 v[124:125], s[4:5], v[62:63], v[8:9]
	v_fmac_f64_e32 v[8:9], s[2:3], v[62:63]
	v_add_f64 v[62:63], v[10:11], v[74:75]
	v_add_f64 v[126:127], v[62:63], v[66:67]
	;; [unrolled: 1-line block ×3, first 2 shown]
	v_fmac_f64_e32 v[10:11], -0.5, v[62:63]
	v_add_f64 v[62:63], v[78:79], -v[70:71]
	v_fma_f64 v[74:75], s[2:3], v[62:63], v[10:11]
	v_fmac_f64_e32 v[10:11], s[4:5], v[62:63]
	v_add_f64 v[62:63], v[96:97], v[72:73]
	v_add_f64 v[78:79], v[62:63], v[64:65]
	;; [unrolled: 1-line block ×3, first 2 shown]
	v_fmac_f64_e32 v[96:97], -0.5, v[62:63]
	v_add_f64 v[62:63], v[68:69], -v[60:61]
	v_fma_f64 v[70:71], s[4:5], v[62:63], v[96:97]
	v_fmac_f64_e32 v[96:97], s[2:3], v[62:63]
	v_add_f64 v[62:63], v[76:77], v[68:69]
	v_add_f64 v[48:49], v[12:13], v[128:129]
	v_add_f64 v[12:13], v[12:13], -v[128:129]
	v_add_f64 v[128:129], v[62:63], v[60:61]
	v_add_f64 v[60:61], v[68:69], v[60:61]
	v_fmac_f64_e32 v[76:77], -0.5, v[60:61]
	v_add_f64 v[60:61], v[72:73], -v[64:65]
	v_fma_f64 v[62:63], s[2:3], v[60:61], v[76:77]
	v_fmac_f64_e32 v[76:77], s[4:5], v[60:61]
	v_add_f64 v[64:65], v[122:123], v[78:79]
	v_mul_f64 v[72:73], v[62:63], s[4:5]
	v_mul_f64 v[130:131], v[76:77], s[4:5]
	v_mul_f64 v[134:135], v[76:77], -0.5
	v_add_f64 v[76:77], v[122:123], -v[78:79]
	v_add_f64 v[122:123], v[86:87], v[98:99]
	v_fmac_f64_e32 v[72:73], 0.5, v[70:71]
	v_fmac_f64_e32 v[130:131], -0.5, v[96:97]
	v_fmac_f64_e32 v[134:135], s[2:3], v[96:97]
	v_add_f64 v[96:97], v[4:5], v[86:87]
	v_fmac_f64_e32 v[4:5], -0.5, v[122:123]
	v_add_f64 v[122:123], v[94:95], -v[120:121]
	v_add_f64 v[60:61], v[124:125], v[72:73]
	v_add_f64 v[72:73], v[124:125], -v[72:73]
	v_fma_f64 v[124:125], s[4:5], v[122:123], v[4:5]
	v_fmac_f64_e32 v[4:5], s[2:3], v[122:123]
	v_add_f64 v[122:123], v[6:7], v[94:95]
	v_add_f64 v[94:95], v[94:95], v[120:121]
	v_fmac_f64_e32 v[6:7], -0.5, v[94:95]
	v_add_f64 v[86:87], v[86:87], -v[98:99]
	v_fma_f64 v[94:95], s[2:3], v[86:87], v[6:7]
	v_fmac_f64_e32 v[6:7], s[4:5], v[86:87]
	v_add_f64 v[86:87], v[90:91], v[80:81]
	v_add_f64 v[96:97], v[96:97], v[98:99]
	;; [unrolled: 1-line block ×4, first 2 shown]
	v_mul_f64 v[46:47], v[140:141], s[4:5]
	v_fmac_f64_e32 v[90:91], -0.5, v[86:87]
	v_add_f64 v[86:87], v[82:83], -v[88:89]
	v_fmac_f64_e32 v[46:47], -0.5, v[136:137]
	v_add_f64 v[122:123], v[122:123], v[120:121]
	v_fma_f64 v[120:121], s[4:5], v[86:87], v[90:91]
	v_fmac_f64_e32 v[90:91], s[2:3], v[86:87]
	v_add_f64 v[86:87], v[92:93], v[82:83]
	v_add_f64 v[82:83], v[82:83], v[88:89]
	v_add_f64 v[24:25], v[28:29], v[46:47]
	v_add_f64 v[28:29], v[28:29], -v[46:47]
	v_add_f64 v[46:47], v[58:59], v[132:133]
	v_add_f64 v[58:59], v[58:59], -v[132:133]
	v_mul_f64 v[132:133], v[62:63], 0.5
	v_fmac_f64_e32 v[92:93], -0.5, v[82:83]
	v_add_f64 v[80:81], v[80:81], -v[84:85]
	v_fmac_f64_e32 v[132:133], s[2:3], v[70:71]
	v_fma_f64 v[82:83], s[2:3], v[80:81], v[92:93]
	v_add_f64 v[66:67], v[126:127], v[128:129]
	v_add_f64 v[62:63], v[74:75], v[132:133]
	v_add_f64 v[78:79], v[126:127], -v[128:129]
	v_add_f64 v[74:75], v[74:75], -v[132:133]
	v_fmac_f64_e32 v[92:93], s[4:5], v[80:81]
	v_mul_f64 v[128:129], v[82:83], s[4:5]
	v_mul_f64 v[132:133], v[82:83], 0.5
	v_add_f64 v[68:69], v[8:9], v[130:131]
	v_add_f64 v[8:9], v[8:9], -v[130:131]
	v_fmac_f64_e32 v[128:129], 0.5, v[120:121]
	v_mul_f64 v[130:131], v[92:93], s[4:5]
	v_fmac_f64_e32 v[132:133], s[2:3], v[120:121]
	v_mul_f64 v[120:121], v[92:93], -0.5
	v_add_f64 v[126:127], v[86:87], v[88:89]
	v_fmac_f64_e32 v[130:131], -0.5, v[90:91]
	v_fmac_f64_e32 v[120:121], s[2:3], v[90:91]
	v_add_f64 v[70:71], v[10:11], v[134:135]
	v_add_f64 v[10:11], v[10:11], -v[134:135]
	v_add_f64 v[84:85], v[96:97], v[98:99]
	v_add_f64 v[80:81], v[124:125], v[128:129]
	;; [unrolled: 1-line block ×6, first 2 shown]
	v_add_f64 v[96:97], v[96:97], -v[98:99]
	v_add_f64 v[92:93], v[124:125], -v[128:129]
	;; [unrolled: 1-line block ×6, first 2 shown]
	s_barrier
	ds_write_b128 v206, v[20:23]
	ds_write_b128 v206, v[16:19] offset:1440
	ds_write_b128 v206, v[24:27] offset:2880
	ds_write_b128 v206, v[36:39] offset:4320
	ds_write_b128 v206, v[32:35] offset:5760
	ds_write_b128 v206, v[28:31] offset:7200
	ds_write_b128 v207, v[44:47]
	ds_write_b128 v207, v[40:43] offset:1440
	ds_write_b128 v207, v[48:51] offset:2880
	ds_write_b128 v207, v[56:59] offset:4320
	ds_write_b128 v207, v[52:55] offset:5760
	ds_write_b128 v207, v[12:15] offset:7200
	;; [unrolled: 6-line block ×4, first 2 shown]
	scratch_load_dword v4, off, off offset:584 ; 4-byte Folded Reload
	v_add_f64 v[122:123], v[106:107], v[116:117]
	v_add_f64 v[120:121], v[0:1], v[106:107]
	v_fmac_f64_e32 v[0:1], -0.5, v[122:123]
	v_add_f64 v[122:123], v[114:115], -v[118:119]
	v_fma_f64 v[124:125], s[4:5], v[122:123], v[0:1]
	v_fmac_f64_e32 v[0:1], s[2:3], v[122:123]
	v_add_f64 v[122:123], v[2:3], v[114:115]
	v_add_f64 v[114:115], v[114:115], v[118:119]
	v_fmac_f64_e32 v[2:3], -0.5, v[114:115]
	v_add_f64 v[106:107], v[106:107], -v[116:117]
	v_fma_f64 v[114:115], s[2:3], v[106:107], v[2:3]
	v_fmac_f64_e32 v[2:3], s[4:5], v[106:107]
	v_add_f64 v[106:107], v[110:111], v[100:101]
	v_add_f64 v[120:121], v[120:121], v[116:117]
	v_add_f64 v[116:117], v[106:107], v[104:105]
	v_add_f64 v[106:107], v[100:101], v[104:105]
	v_fmac_f64_e32 v[110:111], -0.5, v[106:107]
	v_add_f64 v[106:107], v[102:103], -v[108:109]
	v_add_f64 v[122:123], v[122:123], v[118:119]
	v_fma_f64 v[118:119], s[4:5], v[106:107], v[110:111]
	v_fmac_f64_e32 v[110:111], s[2:3], v[106:107]
	v_add_f64 v[106:107], v[112:113], v[102:103]
	v_add_f64 v[102:103], v[102:103], v[108:109]
	v_fmac_f64_e32 v[112:113], -0.5, v[102:103]
	v_add_f64 v[100:101], v[100:101], -v[104:105]
	v_fma_f64 v[102:103], s[2:3], v[100:101], v[112:113]
	v_fmac_f64_e32 v[112:113], s[4:5], v[100:101]
	v_mul_f64 v[128:129], v[102:103], s[4:5]
	v_mul_f64 v[130:131], v[112:113], s[4:5]
	v_mul_f64 v[132:133], v[102:103], 0.5
	v_mul_f64 v[134:135], v[112:113], -0.5
	v_add_f64 v[126:127], v[106:107], v[108:109]
	v_fmac_f64_e32 v[128:129], 0.5, v[118:119]
	v_fmac_f64_e32 v[130:131], -0.5, v[110:111]
	v_fmac_f64_e32 v[132:133], s[2:3], v[118:119]
	v_fmac_f64_e32 v[134:135], s[2:3], v[110:111]
	v_add_f64 v[104:105], v[120:121], v[116:117]
	v_add_f64 v[100:101], v[124:125], v[128:129]
	;; [unrolled: 1-line block ×6, first 2 shown]
	v_add_f64 v[116:117], v[120:121], -v[116:117]
	v_add_f64 v[112:113], v[124:125], -v[128:129]
	;; [unrolled: 1-line block ×6, first 2 shown]
	s_waitcnt vmcnt(0)
	ds_write_b128 v4, v[104:107]
	ds_write_b128 v4, v[100:103] offset:1440
	ds_write_b128 v4, v[108:111] offset:2880
	;; [unrolled: 1-line block ×5, first 2 shown]
	s_waitcnt lgkmcnt(0)
	s_barrier
	ds_read_b128 v[32:35], v252
	ds_read_b128 v[116:119], v252 offset:8640
	ds_read_b128 v[112:115], v252 offset:17280
	ds_read_b128 v[108:111], v252 offset:25920
	ds_read_b128 v[104:107], v252 offset:34560
	ds_read_b128 v[96:99], v252 offset:43200
	ds_read_b128 v[36:39], v252 offset:1728
	ds_read_b128 v[100:103], v252 offset:10368
	ds_read_b128 v[92:95], v252 offset:19008
	ds_read_b128 v[88:91], v252 offset:27648
	ds_read_b128 v[84:87], v252 offset:36288
	ds_read_b128 v[80:83], v252 offset:44928
	ds_read_b128 v[8:11], v252 offset:3456
	ds_read_b128 v[76:79], v252 offset:12096
	ds_read_b128 v[72:75], v252 offset:20736
	ds_read_b128 v[68:71], v252 offset:29376
	ds_read_b128 v[64:67], v252 offset:38016
	ds_read_b128 v[60:63], v252 offset:46656
	ds_read_b128 v[4:7], v252 offset:5184
	ds_read_b128 v[56:59], v252 offset:13824
	ds_read_b128 v[52:55], v252 offset:22464
	ds_read_b128 v[44:47], v252 offset:31104
	ds_read_b128 v[28:31], v252 offset:39744
	ds_read_b128 v[20:23], v252 offset:48384
	ds_read_b128 v[0:3], v252 offset:6912
	ds_read_b128 v[48:51], v252 offset:15552
	ds_read_b128 v[40:43], v252 offset:24192
	ds_read_b128 v[24:27], v252 offset:32832
	ds_read_b128 v[16:19], v252 offset:41472
	ds_read_b128 v[12:15], v252 offset:50112
	s_waitcnt lgkmcnt(14)
	v_mul_f64 v[158:159], v[188:189], v[98:99]
	v_fmac_f64_e32 v[158:159], v[186:187], v[96:97]
	v_mul_f64 v[96:97], v[188:189], v[96:97]
	v_mul_f64 v[126:127], v[192:193], v[90:91]
	v_fma_f64 v[160:161], v[186:187], v[98:99], -v[96:97]
	v_mul_f64 v[96:97], v[170:171], v[100:101]
	v_fmac_f64_e32 v[126:127], v[190:191], v[88:89]
	v_mul_f64 v[88:89], v[192:193], v[88:89]
	v_fma_f64 v[124:125], v[168:169], v[102:103], -v[96:97]
	v_fma_f64 v[128:129], v[190:191], v[90:91], -v[88:89]
	v_accvgpr_read_b32 v91, a3
	v_mul_f64 v[96:97], v[180:181], v[78:79]
	v_accvgpr_read_b32 v90, a2
	v_fmac_f64_e32 v[96:97], v[178:179], v[76:77]
	v_mul_f64 v[76:77], v[180:181], v[76:77]
	v_accvgpr_read_b32 v89, a1
	v_accvgpr_read_b32 v88, a0
	v_mul_f64 v[142:143], v[90:91], v[86:87]
	v_mul_f64 v[130:131], v[174:175], v[82:83]
	v_fma_f64 v[76:77], v[178:179], v[78:79], -v[76:77]
	v_mul_f64 v[78:79], v[184:185], v[74:75]
	v_fmac_f64_e32 v[142:143], v[88:89], v[84:85]
	v_mul_f64 v[84:85], v[90:91], v[84:85]
	v_fmac_f64_e32 v[130:131], v[172:173], v[80:81]
	;; [unrolled: 2-line block ×3, first 2 shown]
	v_mul_f64 v[72:73], v[184:185], v[72:73]
	v_accvgpr_read_b32 v123, a23
	v_mul_f64 v[132:133], v[166:167], v[94:95]
	v_fma_f64 v[144:145], v[88:89], v[86:87], -v[84:85]
	v_fma_f64 v[134:135], v[172:173], v[82:83], -v[80:81]
	;; [unrolled: 1-line block ×3, first 2 shown]
	v_mul_f64 v[72:73], v[204:205], v[70:71]
	v_accvgpr_read_b32 v83, a19
	s_waitcnt lgkmcnt(9)
	v_mul_f64 v[86:87], v[222:223], v[54:55]
	v_accvgpr_read_b32 v122, a22
	v_fmac_f64_e32 v[132:133], v[164:165], v[92:93]
	v_mul_f64 v[92:93], v[166:167], v[92:93]
	v_fmac_f64_e32 v[72:73], v[202:203], v[68:69]
	v_mul_f64 v[68:69], v[204:205], v[68:69]
	v_accvgpr_read_b32 v82, a18
	v_fmac_f64_e32 v[86:87], v[220:221], v[52:53]
	v_mul_f64 v[52:53], v[222:223], v[52:53]
	v_accvgpr_read_b32 v121, a21
	v_accvgpr_read_b32 v120, a20
	v_mul_f64 v[138:139], v[122:123], v[118:119]
	v_fma_f64 v[136:137], v[164:165], v[94:95], -v[92:93]
	v_fma_f64 v[68:69], v[202:203], v[70:71], -v[68:69]
	v_accvgpr_read_b32 v81, a17
	v_accvgpr_read_b32 v80, a16
	v_mul_f64 v[70:71], v[82:83], v[66:67]
	v_fma_f64 v[94:95], v[220:221], v[54:55], -v[52:53]
	v_accvgpr_read_b32 v55, a27
	v_fmac_f64_e32 v[138:139], v[120:121], v[116:117]
	v_mul_f64 v[116:117], v[122:123], v[116:117]
	v_fmac_f64_e32 v[70:71], v[80:81], v[64:65]
	v_mul_f64 v[64:65], v[82:83], v[64:65]
	v_accvgpr_read_b32 v54, a26
	v_fma_f64 v[140:141], v[120:121], v[118:119], -v[116:117]
	v_accvgpr_read_b32 v119, a15
	v_fma_f64 v[66:67], v[80:81], v[66:67], -v[64:65]
	v_accvgpr_read_b32 v53, a25
	v_accvgpr_read_b32 v52, a24
	s_waitcnt lgkmcnt(8)
	v_mul_f64 v[80:81], v[54:55], v[46:47]
	v_accvgpr_read_b32 v118, a14
	v_fmac_f64_e32 v[80:81], v[52:53], v[44:45]
	v_mul_f64 v[44:45], v[54:55], v[44:45]
	v_accvgpr_read_b32 v117, a13
	v_accvgpr_read_b32 v116, a12
	v_mul_f64 v[146:147], v[118:119], v[114:115]
	v_fma_f64 v[82:83], v[52:53], v[46:47], -v[44:45]
	v_accvgpr_read_b32 v47, a35
	v_fmac_f64_e32 v[146:147], v[116:117], v[112:113]
	v_mul_f64 v[112:113], v[118:119], v[112:113]
	v_accvgpr_read_b32 v46, a34
	v_fma_f64 v[148:149], v[116:117], v[114:115], -v[112:113]
	v_accvgpr_read_b32 v115, a11
	v_accvgpr_read_b32 v45, a33
	;; [unrolled: 1-line block ×3, first 2 shown]
	s_waitcnt lgkmcnt(7)
	v_mul_f64 v[98:99], v[46:47], v[30:31]
	v_accvgpr_read_b32 v114, a10
	v_fmac_f64_e32 v[98:99], v[44:45], v[28:29]
	v_mul_f64 v[28:29], v[46:47], v[28:29]
	v_accvgpr_read_b32 v113, a9
	v_accvgpr_read_b32 v112, a8
	v_mul_f64 v[150:151], v[114:115], v[110:111]
	v_fma_f64 v[120:121], v[44:45], v[30:31], -v[28:29]
	v_accvgpr_read_b32 v28, a36
	v_fmac_f64_e32 v[150:151], v[112:113], v[108:109]
	v_mul_f64 v[108:109], v[114:115], v[108:109]
	v_accvgpr_read_b32 v30, a38
	v_accvgpr_read_b32 v31, a39
	v_fma_f64 v[152:153], v[112:113], v[110:111], -v[108:109]
	v_accvgpr_read_b32 v111, a7
	v_accvgpr_read_b32 v29, a37
	s_waitcnt lgkmcnt(6)
	v_mul_f64 v[84:85], v[30:31], v[22:23]
	v_accvgpr_read_b32 v110, a6
	v_fmac_f64_e32 v[84:85], v[28:29], v[20:21]
	v_mul_f64 v[20:21], v[30:31], v[20:21]
	v_accvgpr_read_b32 v109, a5
	v_accvgpr_read_b32 v108, a4
	v_mul_f64 v[154:155], v[110:111], v[106:107]
	v_fma_f64 v[88:89], v[28:29], v[22:23], -v[20:21]
	v_accvgpr_read_b32 v28, a28
	v_fmac_f64_e32 v[154:155], v[108:109], v[104:105]
	v_mul_f64 v[104:105], v[110:111], v[104:105]
	s_waitcnt lgkmcnt(4)
	v_mul_f64 v[20:21], v[250:251], v[48:49]
	v_accvgpr_read_b32 v30, a30
	v_accvgpr_read_b32 v31, a31
	v_fma_f64 v[156:157], v[108:109], v[106:107], -v[104:105]
	v_fma_f64 v[112:113], v[248:249], v[50:51], -v[20:21]
	v_accvgpr_read_b32 v29, a29
	s_waitcnt lgkmcnt(3)
	v_mul_f64 v[106:107], v[30:31], v[42:43]
	v_mul_f64 v[20:21], v[30:31], v[40:41]
	v_fmac_f64_e32 v[106:107], v[28:29], v[40:41]
	v_fma_f64 v[114:115], v[28:29], v[42:43], -v[20:21]
	v_accvgpr_read_b32 v28, a40
	v_accvgpr_read_b32 v30, a42
	;; [unrolled: 1-line block ×4, first 2 shown]
	s_waitcnt lgkmcnt(2)
	v_mul_f64 v[20:21], v[30:31], v[24:25]
	v_mul_f64 v[122:123], v[170:171], v[102:103]
	v_fma_f64 v[102:103], v[28:29], v[26:27], -v[20:21]
	v_accvgpr_read_b32 v20, a44
	v_accvgpr_read_b32 v22, a46
	;; [unrolled: 1-line block ×4, first 2 shown]
	s_waitcnt lgkmcnt(1)
	v_mul_f64 v[116:117], v[22:23], v[18:19]
	v_fmac_f64_e32 v[116:117], v[20:21], v[16:17]
	v_mul_f64 v[16:17], v[22:23], v[16:17]
	v_fma_f64 v[118:119], v[20:21], v[18:19], -v[16:17]
	v_accvgpr_read_b32 v16, a48
	v_accvgpr_read_b32 v18, a50
	;; [unrolled: 1-line block ×4, first 2 shown]
	s_waitcnt lgkmcnt(0)
	v_mul_f64 v[104:105], v[18:19], v[14:15]
	v_fmac_f64_e32 v[104:105], v[16:17], v[12:13]
	v_mul_f64 v[12:13], v[18:19], v[12:13]
	v_fmac_f64_e32 v[122:123], v[168:169], v[100:101]
	v_mul_f64 v[100:101], v[30:31], v[26:27]
	v_fma_f64 v[108:109], v[16:17], v[14:15], -v[12:13]
	v_add_f64 v[12:13], v[32:33], v[146:147]
	v_fmac_f64_e32 v[100:101], v[28:29], v[24:25]
	v_add_f64 v[24:25], v[12:13], v[154:155]
	v_add_f64 v[12:13], v[146:147], v[154:155]
	v_fmac_f64_e32 v[32:33], -0.5, v[12:13]
	v_add_f64 v[12:13], v[148:149], -v[156:157]
	v_fma_f64 v[26:27], s[4:5], v[12:13], v[32:33]
	v_fmac_f64_e32 v[32:33], s[2:3], v[12:13]
	v_add_f64 v[12:13], v[34:35], v[148:149]
	v_add_f64 v[30:31], v[12:13], v[156:157]
	v_add_f64 v[12:13], v[148:149], v[156:157]
	v_fmac_f64_e32 v[34:35], -0.5, v[12:13]
	v_add_f64 v[12:13], v[146:147], -v[154:155]
	v_fma_f64 v[40:41], s[2:3], v[12:13], v[34:35]
	v_fmac_f64_e32 v[34:35], s[4:5], v[12:13]
	v_add_f64 v[12:13], v[138:139], v[150:151]
	v_add_f64 v[28:29], v[12:13], v[158:159]
	v_add_f64 v[12:13], v[150:151], v[158:159]
	v_fmac_f64_e32 v[138:139], -0.5, v[12:13]
	v_add_f64 v[12:13], v[152:153], -v[160:161]
	v_fma_f64 v[14:15], s[4:5], v[12:13], v[138:139]
	v_fmac_f64_e32 v[138:139], s[2:3], v[12:13]
	v_add_f64 v[12:13], v[140:141], v[152:153]
	v_add_f64 v[42:43], v[12:13], v[160:161]
	v_add_f64 v[12:13], v[152:153], v[160:161]
	v_fmac_f64_e32 v[140:141], -0.5, v[12:13]
	v_add_f64 v[12:13], v[150:151], -v[158:159]
	v_mul_f64 v[110:111], v[250:251], v[50:51]
	v_fma_f64 v[22:23], s[2:3], v[12:13], v[140:141]
	v_fmac_f64_e32 v[110:111], v[248:249], v[48:49]
	v_mul_f64 v[44:45], v[22:23], s[4:5]
	v_mul_f64 v[48:49], v[22:23], 0.5
	v_fmac_f64_e32 v[44:45], 0.5, v[14:15]
	v_fmac_f64_e32 v[48:49], s[2:3], v[14:15]
	v_fmac_f64_e32 v[140:141], s[4:5], v[12:13]
	v_add_f64 v[16:17], v[24:25], v[28:29]
	v_add_f64 v[12:13], v[26:27], v[44:45]
	;; [unrolled: 1-line block ×3, first 2 shown]
	v_add_f64 v[28:29], v[24:25], -v[28:29]
	v_add_f64 v[24:25], v[26:27], -v[44:45]
	;; [unrolled: 1-line block ×3, first 2 shown]
	v_add_f64 v[40:41], v[36:37], v[132:133]
	v_add_f64 v[52:53], v[40:41], v[142:143]
	v_add_f64 v[40:41], v[132:133], v[142:143]
	v_mul_f64 v[90:91], v[196:197], v[58:59]
	v_fmac_f64_e32 v[36:37], -0.5, v[40:41]
	v_add_f64 v[40:41], v[136:137], -v[144:145]
	v_fmac_f64_e32 v[90:91], v[194:195], v[56:57]
	v_mul_f64 v[56:57], v[196:197], v[56:57]
	v_fma_f64 v[54:55], s[4:5], v[40:41], v[36:37]
	v_fmac_f64_e32 v[36:37], s[2:3], v[40:41]
	v_add_f64 v[40:41], v[38:39], v[136:137]
	v_mul_f64 v[64:65], v[200:201], v[62:63]
	v_fma_f64 v[92:93], v[194:195], v[58:59], -v[56:57]
	v_add_f64 v[58:59], v[40:41], v[144:145]
	v_add_f64 v[40:41], v[136:137], v[144:145]
	v_fmac_f64_e32 v[64:65], v[198:199], v[60:61]
	v_mul_f64 v[60:61], v[200:201], v[60:61]
	v_fmac_f64_e32 v[38:39], -0.5, v[40:41]
	v_add_f64 v[40:41], v[132:133], -v[142:143]
	v_fma_f64 v[60:61], v[198:199], v[62:63], -v[60:61]
	v_fma_f64 v[62:63], s[2:3], v[40:41], v[38:39]
	v_fmac_f64_e32 v[38:39], s[4:5], v[40:41]
	v_add_f64 v[40:41], v[122:123], v[126:127]
	v_add_f64 v[56:57], v[40:41], v[130:131]
	;; [unrolled: 1-line block ×3, first 2 shown]
	v_fmac_f64_e32 v[122:123], -0.5, v[40:41]
	v_add_f64 v[40:41], v[128:129], -v[134:135]
	v_add_f64 v[18:19], v[30:31], v[42:43]
	v_add_f64 v[30:31], v[30:31], -v[42:43]
	v_fma_f64 v[42:43], s[4:5], v[40:41], v[122:123]
	v_fmac_f64_e32 v[122:123], s[2:3], v[40:41]
	v_add_f64 v[40:41], v[124:125], v[128:129]
	v_mul_f64 v[50:51], v[140:141], -0.5
	v_add_f64 v[132:133], v[40:41], v[134:135]
	v_add_f64 v[40:41], v[128:129], v[134:135]
	v_fmac_f64_e32 v[50:51], s[2:3], v[138:139]
	v_fmac_f64_e32 v[124:125], -0.5, v[40:41]
	v_add_f64 v[40:41], v[126:127], -v[130:131]
	v_add_f64 v[22:23], v[34:35], v[50:51]
	v_add_f64 v[34:35], v[34:35], -v[50:51]
	v_fma_f64 v[50:51], s[2:3], v[40:41], v[124:125]
	v_mul_f64 v[126:127], v[50:51], s[4:5]
	v_mul_f64 v[130:131], v[50:51], 0.5
	v_fmac_f64_e32 v[124:125], s[4:5], v[40:41]
	v_fmac_f64_e32 v[126:127], 0.5, v[42:43]
	v_fmac_f64_e32 v[130:131], s[2:3], v[42:43]
	v_add_f64 v[44:45], v[52:53], v[56:57]
	v_add_f64 v[40:41], v[54:55], v[126:127]
	v_mul_f64 v[128:129], v[124:125], s[4:5]
	v_add_f64 v[42:43], v[62:63], v[130:131]
	v_mul_f64 v[124:125], v[124:125], -0.5
	v_add_f64 v[56:57], v[52:53], -v[56:57]
	v_add_f64 v[52:53], v[54:55], -v[126:127]
	;; [unrolled: 1-line block ×3, first 2 shown]
	v_add_f64 v[62:63], v[8:9], v[78:79]
	v_fmac_f64_e32 v[128:129], -0.5, v[122:123]
	v_fmac_f64_e32 v[124:125], s[2:3], v[122:123]
	v_add_f64 v[122:123], v[62:63], v[70:71]
	v_add_f64 v[62:63], v[78:79], v[70:71]
	v_fmac_f64_e32 v[8:9], -0.5, v[62:63]
	v_add_f64 v[62:63], v[74:75], -v[66:67]
	v_add_f64 v[50:51], v[38:39], v[124:125]
	v_add_f64 v[38:39], v[38:39], -v[124:125]
	v_fma_f64 v[124:125], s[4:5], v[62:63], v[8:9]
	v_fmac_f64_e32 v[8:9], s[2:3], v[62:63]
	v_add_f64 v[62:63], v[10:11], v[74:75]
	v_add_f64 v[126:127], v[62:63], v[66:67]
	;; [unrolled: 1-line block ×3, first 2 shown]
	v_fmac_f64_e32 v[10:11], -0.5, v[62:63]
	v_add_f64 v[62:63], v[78:79], -v[70:71]
	v_fma_f64 v[74:75], s[2:3], v[62:63], v[10:11]
	v_fmac_f64_e32 v[10:11], s[4:5], v[62:63]
	v_add_f64 v[62:63], v[96:97], v[72:73]
	v_add_f64 v[78:79], v[62:63], v[64:65]
	;; [unrolled: 1-line block ×3, first 2 shown]
	v_fmac_f64_e32 v[96:97], -0.5, v[62:63]
	v_add_f64 v[62:63], v[68:69], -v[60:61]
	v_fma_f64 v[70:71], s[4:5], v[62:63], v[96:97]
	v_fmac_f64_e32 v[96:97], s[2:3], v[62:63]
	v_add_f64 v[62:63], v[76:77], v[68:69]
	v_add_f64 v[48:49], v[36:37], v[128:129]
	v_add_f64 v[36:37], v[36:37], -v[128:129]
	v_add_f64 v[128:129], v[62:63], v[60:61]
	v_add_f64 v[60:61], v[68:69], v[60:61]
	v_fmac_f64_e32 v[76:77], -0.5, v[60:61]
	v_add_f64 v[60:61], v[72:73], -v[64:65]
	v_fma_f64 v[62:63], s[2:3], v[60:61], v[76:77]
	v_fmac_f64_e32 v[76:77], s[4:5], v[60:61]
	v_add_f64 v[64:65], v[122:123], v[78:79]
	v_mul_f64 v[72:73], v[62:63], s[4:5]
	v_mul_f64 v[130:131], v[76:77], s[4:5]
	v_mul_f64 v[134:135], v[76:77], -0.5
	v_add_f64 v[76:77], v[122:123], -v[78:79]
	v_add_f64 v[122:123], v[86:87], v[98:99]
	v_fmac_f64_e32 v[72:73], 0.5, v[70:71]
	v_fmac_f64_e32 v[130:131], -0.5, v[96:97]
	v_fmac_f64_e32 v[134:135], s[2:3], v[96:97]
	v_add_f64 v[96:97], v[4:5], v[86:87]
	v_fmac_f64_e32 v[4:5], -0.5, v[122:123]
	v_add_f64 v[122:123], v[94:95], -v[120:121]
	v_add_f64 v[60:61], v[124:125], v[72:73]
	v_add_f64 v[72:73], v[124:125], -v[72:73]
	v_fma_f64 v[124:125], s[4:5], v[122:123], v[4:5]
	v_fmac_f64_e32 v[4:5], s[2:3], v[122:123]
	v_add_f64 v[122:123], v[6:7], v[94:95]
	v_add_f64 v[94:95], v[94:95], v[120:121]
	v_fmac_f64_e32 v[6:7], -0.5, v[94:95]
	v_add_f64 v[86:87], v[86:87], -v[98:99]
	v_fma_f64 v[94:95], s[2:3], v[86:87], v[6:7]
	v_fmac_f64_e32 v[6:7], s[4:5], v[86:87]
	v_add_f64 v[86:87], v[90:91], v[80:81]
	v_add_f64 v[96:97], v[96:97], v[98:99]
	;; [unrolled: 1-line block ×4, first 2 shown]
	v_mul_f64 v[46:47], v[140:141], s[4:5]
	v_fmac_f64_e32 v[90:91], -0.5, v[86:87]
	v_add_f64 v[86:87], v[82:83], -v[88:89]
	v_fmac_f64_e32 v[46:47], -0.5, v[138:139]
	v_add_f64 v[122:123], v[122:123], v[120:121]
	v_fma_f64 v[120:121], s[4:5], v[86:87], v[90:91]
	v_fmac_f64_e32 v[90:91], s[2:3], v[86:87]
	v_add_f64 v[86:87], v[92:93], v[82:83]
	v_add_f64 v[82:83], v[82:83], v[88:89]
	v_add_f64 v[20:21], v[32:33], v[46:47]
	v_add_f64 v[32:33], v[32:33], -v[46:47]
	v_add_f64 v[46:47], v[58:59], v[132:133]
	v_add_f64 v[58:59], v[58:59], -v[132:133]
	v_mul_f64 v[132:133], v[62:63], 0.5
	v_fmac_f64_e32 v[92:93], -0.5, v[82:83]
	v_add_f64 v[80:81], v[80:81], -v[84:85]
	v_fmac_f64_e32 v[132:133], s[2:3], v[70:71]
	v_fma_f64 v[82:83], s[2:3], v[80:81], v[92:93]
	v_add_f64 v[66:67], v[126:127], v[128:129]
	v_add_f64 v[62:63], v[74:75], v[132:133]
	v_add_f64 v[78:79], v[126:127], -v[128:129]
	v_add_f64 v[74:75], v[74:75], -v[132:133]
	v_fmac_f64_e32 v[92:93], s[4:5], v[80:81]
	v_mul_f64 v[128:129], v[82:83], s[4:5]
	v_mul_f64 v[132:133], v[82:83], 0.5
	v_add_f64 v[126:127], v[86:87], v[88:89]
	v_fmac_f64_e32 v[128:129], 0.5, v[120:121]
	v_fmac_f64_e32 v[132:133], s[2:3], v[120:121]
	v_mul_f64 v[120:121], v[92:93], -0.5
	v_add_f64 v[68:69], v[8:9], v[130:131]
	v_add_f64 v[8:9], v[8:9], -v[130:131]
	v_add_f64 v[84:85], v[96:97], v[98:99]
	v_mul_f64 v[130:131], v[92:93], s[4:5]
	v_add_f64 v[86:87], v[122:123], v[126:127]
	v_fmac_f64_e32 v[120:121], s[2:3], v[90:91]
	v_add_f64 v[96:97], v[96:97], -v[98:99]
	v_add_f64 v[98:99], v[122:123], -v[126:127]
	v_add_f64 v[122:123], v[106:107], v[116:117]
	v_fmac_f64_e32 v[130:131], -0.5, v[90:91]
	v_add_f64 v[90:91], v[6:7], v[120:121]
	v_add_f64 v[6:7], v[6:7], -v[120:121]
	v_add_f64 v[120:121], v[0:1], v[106:107]
	v_fmac_f64_e32 v[0:1], -0.5, v[122:123]
	v_add_f64 v[122:123], v[114:115], -v[118:119]
	v_add_f64 v[80:81], v[124:125], v[128:129]
	v_add_f64 v[92:93], v[124:125], -v[128:129]
	v_fma_f64 v[124:125], s[4:5], v[122:123], v[0:1]
	v_fmac_f64_e32 v[0:1], s[2:3], v[122:123]
	v_add_f64 v[122:123], v[2:3], v[114:115]
	v_add_f64 v[114:115], v[114:115], v[118:119]
	v_fmac_f64_e32 v[2:3], -0.5, v[114:115]
	v_add_f64 v[106:107], v[106:107], -v[116:117]
	v_fma_f64 v[114:115], s[2:3], v[106:107], v[2:3]
	v_fmac_f64_e32 v[2:3], s[4:5], v[106:107]
	v_add_f64 v[106:107], v[110:111], v[100:101]
	v_add_f64 v[120:121], v[120:121], v[116:117]
	;; [unrolled: 1-line block ×4, first 2 shown]
	v_fmac_f64_e32 v[110:111], -0.5, v[106:107]
	v_add_f64 v[106:107], v[102:103], -v[108:109]
	v_add_f64 v[122:123], v[122:123], v[118:119]
	v_fma_f64 v[118:119], s[4:5], v[106:107], v[110:111]
	v_fmac_f64_e32 v[110:111], s[2:3], v[106:107]
	v_add_f64 v[106:107], v[112:113], v[102:103]
	v_add_f64 v[102:103], v[102:103], v[108:109]
	v_fmac_f64_e32 v[112:113], -0.5, v[102:103]
	v_add_f64 v[100:101], v[100:101], -v[104:105]
	v_fma_f64 v[102:103], s[2:3], v[100:101], v[112:113]
	v_fmac_f64_e32 v[112:113], s[4:5], v[100:101]
	v_add_f64 v[70:71], v[10:11], v[134:135]
	v_add_f64 v[10:11], v[10:11], -v[134:135]
	v_add_f64 v[88:89], v[4:5], v[130:131]
	v_add_f64 v[82:83], v[94:95], v[132:133]
	v_add_f64 v[4:5], v[4:5], -v[130:131]
	v_add_f64 v[94:95], v[94:95], -v[132:133]
	v_mul_f64 v[128:129], v[102:103], s[4:5]
	v_mul_f64 v[130:131], v[112:113], s[4:5]
	v_mul_f64 v[132:133], v[102:103], 0.5
	v_mul_f64 v[134:135], v[112:113], -0.5
	v_add_f64 v[126:127], v[106:107], v[108:109]
	v_fmac_f64_e32 v[128:129], 0.5, v[118:119]
	v_fmac_f64_e32 v[130:131], -0.5, v[110:111]
	v_fmac_f64_e32 v[132:133], s[2:3], v[118:119]
	v_fmac_f64_e32 v[134:135], s[2:3], v[110:111]
	v_add_f64 v[104:105], v[120:121], v[116:117]
	v_add_f64 v[100:101], v[124:125], v[128:129]
	v_add_f64 v[108:109], v[0:1], v[130:131]
	v_add_f64 v[106:107], v[122:123], v[126:127]
	v_add_f64 v[102:103], v[114:115], v[132:133]
	v_add_f64 v[110:111], v[2:3], v[134:135]
	v_add_f64 v[116:117], v[120:121], -v[116:117]
	v_add_f64 v[112:113], v[124:125], -v[128:129]
	;; [unrolled: 1-line block ×6, first 2 shown]
	ds_write_b128 v252, v[16:19]
	ds_write_b128 v252, v[12:15] offset:8640
	ds_write_b128 v252, v[20:23] offset:17280
	;; [unrolled: 1-line block ×29, first 2 shown]
	s_waitcnt lgkmcnt(0)
	s_barrier
	scratch_load_dwordx4 v[6:9], off, off offset:80 ; 16-byte Folded Reload
	scratch_load_dwordx4 v[10:13], off, off offset:96 ; 16-byte Folded Reload
	ds_read_b128 v[0:3], v252
	s_mov_b32 s2, 0x30abee4d
	s_mov_b32 s3, 0x3f343a27
	s_waitcnt vmcnt(1) lgkmcnt(0)
	v_mul_f64 v[4:5], v[8:9], v[2:3]
	v_fmac_f64_e32 v[4:5], v[6:7], v[0:1]
	v_mul_f64 v[0:1], v[8:9], v[0:1]
	v_fma_f64 v[0:1], v[6:7], v[2:3], -v[0:1]
	v_mul_f64 v[6:7], v[0:1], s[2:3]
	v_mad_u64_u32 v[0:1], s[4:5], s0, v162, 0
	v_mov_b32_e32 v2, v1
	v_mad_u64_u32 v[2:3], s[4:5], s1, v162, v[2:3]
	v_mov_b32_e32 v1, v2
	scratch_load_dwordx2 v[2:3], off, off offset:576 ; 8-byte Folded Reload
	v_accvgpr_read_b32 v8, a206
	v_accvgpr_read_b32 v9, a207
	v_mul_f64 v[4:5], v[4:5], s[2:3]
	s_waitcnt vmcnt(0)
	v_lshl_add_u64 v[2:3], v[8:9], 4, v[2:3]
	v_lshl_add_u64 v[8:9], v[0:1], 4, v[2:3]
	ds_read_b128 v[0:3], v252 offset:17280
	global_store_dwordx4 v[8:9], v[4:7], off
	v_mad_u64_u32 v[8:9], s[4:5], s0, v254, v[8:9]
	s_mul_i32 s4, s1, 0x4380
	s_waitcnt lgkmcnt(0)
	v_mul_f64 v[4:5], v[12:13], v[2:3]
	v_fmac_f64_e32 v[4:5], v[10:11], v[0:1]
	v_mul_f64 v[0:1], v[12:13], v[0:1]
	v_fma_f64 v[0:1], v[10:11], v[2:3], -v[0:1]
	scratch_load_dwordx4 v[10:13], off, off offset:112 ; 16-byte Folded Reload
	v_mul_f64 v[6:7], v[0:1], s[2:3]
	ds_read_b128 v[0:3], v252 offset:34560
	v_mul_f64 v[4:5], v[4:5], s[2:3]
	v_add_u32_e32 v9, s4, v9
	global_store_dwordx4 v[8:9], v[4:7], off
	v_mad_u64_u32 v[8:9], s[6:7], s0, v254, v[8:9]
	v_add_u32_e32 v9, s4, v9
	s_mul_i32 s1, s1, 0xffff7fc0
	s_sub_i32 s1, s1, s0
	s_waitcnt vmcnt(1) lgkmcnt(0)
	v_mul_f64 v[4:5], v[12:13], v[2:3]
	v_fmac_f64_e32 v[4:5], v[10:11], v[0:1]
	v_mul_f64 v[0:1], v[12:13], v[0:1]
	v_fma_f64 v[0:1], v[10:11], v[2:3], -v[0:1]
	scratch_load_dwordx4 v[10:13], off, off offset:144 ; 16-byte Folded Reload
	v_mul_f64 v[6:7], v[0:1], s[2:3]
	ds_read_b128 v[0:3], v252 offset:1728
	v_mul_f64 v[4:5], v[4:5], s[2:3]
	global_store_dwordx4 v[8:9], v[4:7], off
	s_waitcnt vmcnt(1) lgkmcnt(0)
	s_nop 0
	v_mul_f64 v[4:5], v[12:13], v[2:3]
	v_fmac_f64_e32 v[4:5], v[10:11], v[0:1]
	v_mul_f64 v[0:1], v[12:13], v[0:1]
	scratch_load_dwordx4 v[12:15], off, off offset:160 ; 16-byte Folded Reload
	v_fma_f64 v[0:1], v[10:11], v[2:3], -v[0:1]
	v_mul_f64 v[6:7], v[0:1], s[2:3]
	ds_read_b128 v[0:3], v252 offset:19008
	v_mov_b32_e32 v10, 0xffff7fc0
	v_mad_u64_u32 v[8:9], s[6:7], s0, v10, v[8:9]
	v_mul_f64 v[4:5], v[4:5], s[2:3]
	v_add_u32_e32 v9, s1, v9
	global_store_dwordx4 v[8:9], v[4:7], off
	v_mad_u64_u32 v[8:9], s[6:7], s0, v254, v[8:9]
	v_add_u32_e32 v9, s4, v9
	s_waitcnt vmcnt(1) lgkmcnt(0)
	v_mul_f64 v[4:5], v[14:15], v[2:3]
	v_fmac_f64_e32 v[4:5], v[12:13], v[0:1]
	v_mul_f64 v[0:1], v[14:15], v[0:1]
	v_fma_f64 v[0:1], v[12:13], v[2:3], -v[0:1]
	scratch_load_dwordx4 v[12:15], off, off offset:176 ; 16-byte Folded Reload
	v_mul_f64 v[6:7], v[0:1], s[2:3]
	ds_read_b128 v[0:3], v252 offset:36288
	v_mul_f64 v[4:5], v[4:5], s[2:3]
	global_store_dwordx4 v[8:9], v[4:7], off
	v_mad_u64_u32 v[8:9], s[6:7], s0, v254, v[8:9]
	v_add_u32_e32 v9, s4, v9
	s_waitcnt vmcnt(1) lgkmcnt(0)
	v_mul_f64 v[4:5], v[14:15], v[2:3]
	v_fmac_f64_e32 v[4:5], v[12:13], v[0:1]
	v_mul_f64 v[0:1], v[14:15], v[0:1]
	v_fma_f64 v[0:1], v[12:13], v[2:3], -v[0:1]
	scratch_load_dwordx4 v[12:15], off, off offset:192 ; 16-byte Folded Reload
	v_mul_f64 v[6:7], v[0:1], s[2:3]
	ds_read_b128 v[0:3], v252 offset:3456
	v_mul_f64 v[4:5], v[4:5], s[2:3]
	global_store_dwordx4 v[8:9], v[4:7], off
	v_mad_u64_u32 v[8:9], s[6:7], s0, v10, v[8:9]
	v_add_u32_e32 v9, s1, v9
	v_mov_b32_e32 v10, 0xffff7fc0
	s_waitcnt vmcnt(1) lgkmcnt(0)
	v_mul_f64 v[4:5], v[14:15], v[2:3]
	v_fmac_f64_e32 v[4:5], v[12:13], v[0:1]
	v_mul_f64 v[0:1], v[14:15], v[0:1]
	v_fma_f64 v[0:1], v[12:13], v[2:3], -v[0:1]
	scratch_load_dwordx4 v[12:15], off, off offset:208 ; 16-byte Folded Reload
	v_mul_f64 v[6:7], v[0:1], s[2:3]
	ds_read_b128 v[0:3], v252 offset:20736
	v_mul_f64 v[4:5], v[4:5], s[2:3]
	global_store_dwordx4 v[8:9], v[4:7], off
	v_mad_u64_u32 v[8:9], s[6:7], s0, v254, v[8:9]
	v_add_u32_e32 v9, s4, v9
	s_waitcnt vmcnt(1) lgkmcnt(0)
	v_mul_f64 v[4:5], v[14:15], v[2:3]
	v_fmac_f64_e32 v[4:5], v[12:13], v[0:1]
	v_mul_f64 v[0:1], v[14:15], v[0:1]
	v_fma_f64 v[0:1], v[12:13], v[2:3], -v[0:1]
	scratch_load_dwordx4 v[12:15], off, off offset:224 ; 16-byte Folded Reload
	v_mul_f64 v[6:7], v[0:1], s[2:3]
	ds_read_b128 v[0:3], v252 offset:38016
	v_mul_f64 v[4:5], v[4:5], s[2:3]
	global_store_dwordx4 v[8:9], v[4:7], off
	v_mad_u64_u32 v[8:9], s[6:7], s0, v254, v[8:9]
	v_add_u32_e32 v9, s4, v9
	;; [unrolled: 12-line block ×20, first 2 shown]
	v_mad_u64_u32 v[10:11], s[6:7], s0, v10, v[8:9]
	v_add_u32_e32 v11, s1, v11
	s_waitcnt vmcnt(1) lgkmcnt(0)
	v_mul_f64 v[4:5], v[14:15], v[2:3]
	v_fmac_f64_e32 v[4:5], v[12:13], v[0:1]
	v_mul_f64 v[0:1], v[14:15], v[0:1]
	v_fma_f64 v[0:1], v[12:13], v[2:3], -v[0:1]
	scratch_load_dwordx4 v[12:15], off, off offset:512 ; 16-byte Folded Reload
	v_mul_f64 v[6:7], v[0:1], s[2:3]
	ds_read_b128 v[0:3], v252 offset:15552
	v_mul_f64 v[4:5], v[4:5], s[2:3]
	global_store_dwordx4 v[8:9], v[4:7], off
	s_waitcnt vmcnt(1) lgkmcnt(0)
	s_nop 0
	v_mul_f64 v[4:5], v[14:15], v[2:3]
	v_fmac_f64_e32 v[4:5], v[12:13], v[0:1]
	v_mul_f64 v[0:1], v[14:15], v[0:1]
	v_fma_f64 v[0:1], v[12:13], v[2:3], -v[0:1]
	scratch_load_dwordx4 v[12:15], off, off offset:544 ; 16-byte Folded Reload
	v_mul_f64 v[6:7], v[0:1], s[2:3]
	ds_read_b128 v[0:3], v252 offset:32832
	v_mul_f64 v[4:5], v[4:5], s[2:3]
	global_store_dwordx4 v[10:11], v[4:7], off
	s_waitcnt vmcnt(1) lgkmcnt(0)
	s_nop 0
	v_mul_f64 v[4:5], v[14:15], v[2:3]
	v_fmac_f64_e32 v[4:5], v[12:13], v[0:1]
	v_mul_f64 v[0:1], v[14:15], v[0:1]
	v_mul_f64 v[6:7], v[4:5], s[2:3]
	v_fma_f64 v[0:1], v[12:13], v[2:3], -v[0:1]
	v_mad_u64_u32 v[4:5], s[6:7], s0, v254, v[10:11]
	v_mul_f64 v[8:9], v[0:1], s[2:3]
	v_add_u32_e32 v5, s4, v5
	global_store_dwordx4 v[4:5], v[6:9], off
	scratch_load_dwordx4 v[8:11], off, off offset:128 ; 16-byte Folded Reload
	ds_read_b128 v[0:3], v252 offset:50112
	s_waitcnt vmcnt(0) lgkmcnt(0)
	v_mul_f64 v[6:7], v[10:11], v[2:3]
	v_fmac_f64_e32 v[6:7], v[8:9], v[0:1]
	v_mul_f64 v[0:1], v[10:11], v[0:1]
	v_fma_f64 v[0:1], v[8:9], v[2:3], -v[0:1]
	v_mul_f64 v[8:9], v[0:1], s[2:3]
	v_mad_u64_u32 v[0:1], s[0:1], s0, v254, v[4:5]
	v_mul_f64 v[6:7], v[6:7], s[2:3]
	v_add_u32_e32 v1, s4, v1
	global_store_dwordx4 v[0:1], v[6:9], off
.LBB0_2:
	s_endpgm
	.section	.rodata,"a",@progbits
	.p2align	6, 0x0
	.amdhsa_kernel bluestein_single_fwd_len3240_dim1_dp_op_CI_CI
		.amdhsa_group_segment_fixed_size 51840
		.amdhsa_private_segment_fixed_size 784
		.amdhsa_kernarg_size 104
		.amdhsa_user_sgpr_count 2
		.amdhsa_user_sgpr_dispatch_ptr 0
		.amdhsa_user_sgpr_queue_ptr 0
		.amdhsa_user_sgpr_kernarg_segment_ptr 1
		.amdhsa_user_sgpr_dispatch_id 0
		.amdhsa_user_sgpr_kernarg_preload_length 0
		.amdhsa_user_sgpr_kernarg_preload_offset 0
		.amdhsa_user_sgpr_private_segment_size 0
		.amdhsa_uses_dynamic_stack 0
		.amdhsa_enable_private_segment 1
		.amdhsa_system_sgpr_workgroup_id_x 1
		.amdhsa_system_sgpr_workgroup_id_y 0
		.amdhsa_system_sgpr_workgroup_id_z 0
		.amdhsa_system_sgpr_workgroup_info 0
		.amdhsa_system_vgpr_workitem_id 0
		.amdhsa_next_free_vgpr 512
		.amdhsa_next_free_sgpr 32
		.amdhsa_accum_offset 256
		.amdhsa_reserve_vcc 1
		.amdhsa_float_round_mode_32 0
		.amdhsa_float_round_mode_16_64 0
		.amdhsa_float_denorm_mode_32 3
		.amdhsa_float_denorm_mode_16_64 3
		.amdhsa_dx10_clamp 1
		.amdhsa_ieee_mode 1
		.amdhsa_fp16_overflow 0
		.amdhsa_tg_split 0
		.amdhsa_exception_fp_ieee_invalid_op 0
		.amdhsa_exception_fp_denorm_src 0
		.amdhsa_exception_fp_ieee_div_zero 0
		.amdhsa_exception_fp_ieee_overflow 0
		.amdhsa_exception_fp_ieee_underflow 0
		.amdhsa_exception_fp_ieee_inexact 0
		.amdhsa_exception_int_div_zero 0
	.end_amdhsa_kernel
	.text
.Lfunc_end0:
	.size	bluestein_single_fwd_len3240_dim1_dp_op_CI_CI, .Lfunc_end0-bluestein_single_fwd_len3240_dim1_dp_op_CI_CI
                                        ; -- End function
	.section	.AMDGPU.csdata,"",@progbits
; Kernel info:
; codeLenInByte = 41756
; NumSgprs: 38
; NumVgprs: 256
; NumAgprs: 256
; TotalNumVgprs: 512
; ScratchSize: 784
; MemoryBound: 0
; FloatMode: 240
; IeeeMode: 1
; LDSByteSize: 51840 bytes/workgroup (compile time only)
; SGPRBlocks: 4
; VGPRBlocks: 63
; NumSGPRsForWavesPerEU: 38
; NumVGPRsForWavesPerEU: 512
; AccumOffset: 256
; Occupancy: 1
; WaveLimiterHint : 1
; COMPUTE_PGM_RSRC2:SCRATCH_EN: 1
; COMPUTE_PGM_RSRC2:USER_SGPR: 2
; COMPUTE_PGM_RSRC2:TRAP_HANDLER: 0
; COMPUTE_PGM_RSRC2:TGID_X_EN: 1
; COMPUTE_PGM_RSRC2:TGID_Y_EN: 0
; COMPUTE_PGM_RSRC2:TGID_Z_EN: 0
; COMPUTE_PGM_RSRC2:TIDIG_COMP_CNT: 0
; COMPUTE_PGM_RSRC3_GFX90A:ACCUM_OFFSET: 63
; COMPUTE_PGM_RSRC3_GFX90A:TG_SPLIT: 0
	.text
	.p2alignl 6, 3212836864
	.fill 256, 4, 3212836864
	.type	__hip_cuid_e09ffb8cfbea818b,@object ; @__hip_cuid_e09ffb8cfbea818b
	.section	.bss,"aw",@nobits
	.globl	__hip_cuid_e09ffb8cfbea818b
__hip_cuid_e09ffb8cfbea818b:
	.byte	0                               ; 0x0
	.size	__hip_cuid_e09ffb8cfbea818b, 1

	.ident	"AMD clang version 19.0.0git (https://github.com/RadeonOpenCompute/llvm-project roc-6.4.0 25133 c7fe45cf4b819c5991fe208aaa96edf142730f1d)"
	.section	".note.GNU-stack","",@progbits
	.addrsig
	.addrsig_sym __hip_cuid_e09ffb8cfbea818b
	.amdgpu_metadata
---
amdhsa.kernels:
  - .agpr_count:     256
    .args:
      - .actual_access:  read_only
        .address_space:  global
        .offset:         0
        .size:           8
        .value_kind:     global_buffer
      - .actual_access:  read_only
        .address_space:  global
        .offset:         8
        .size:           8
        .value_kind:     global_buffer
      - .actual_access:  read_only
        .address_space:  global
        .offset:         16
        .size:           8
        .value_kind:     global_buffer
      - .actual_access:  read_only
        .address_space:  global
        .offset:         24
        .size:           8
        .value_kind:     global_buffer
      - .actual_access:  read_only
        .address_space:  global
        .offset:         32
        .size:           8
        .value_kind:     global_buffer
      - .offset:         40
        .size:           8
        .value_kind:     by_value
      - .address_space:  global
        .offset:         48
        .size:           8
        .value_kind:     global_buffer
      - .address_space:  global
        .offset:         56
        .size:           8
        .value_kind:     global_buffer
      - .address_space:  global
        .offset:         64
        .size:           8
        .value_kind:     global_buffer
      - .address_space:  global
        .offset:         72
        .size:           8
        .value_kind:     global_buffer
      - .offset:         80
        .size:           4
        .value_kind:     by_value
      - .address_space:  global
        .offset:         88
        .size:           8
        .value_kind:     global_buffer
      - .address_space:  global
        .offset:         96
        .size:           8
        .value_kind:     global_buffer
    .group_segment_fixed_size: 51840
    .kernarg_segment_align: 8
    .kernarg_segment_size: 104
    .language:       OpenCL C
    .language_version:
      - 2
      - 0
    .max_flat_workgroup_size: 108
    .name:           bluestein_single_fwd_len3240_dim1_dp_op_CI_CI
    .private_segment_fixed_size: 784
    .sgpr_count:     38
    .sgpr_spill_count: 0
    .symbol:         bluestein_single_fwd_len3240_dim1_dp_op_CI_CI.kd
    .uniform_work_group_size: 1
    .uses_dynamic_stack: false
    .vgpr_count:     512
    .vgpr_spill_count: 195
    .wavefront_size: 64
amdhsa.target:   amdgcn-amd-amdhsa--gfx950
amdhsa.version:
  - 1
  - 2
...

	.end_amdgpu_metadata
